;; amdgpu-corpus repo=ROCm/rocFFT kind=compiled arch=gfx906 opt=O3
	.text
	.amdgcn_target "amdgcn-amd-amdhsa--gfx906"
	.amdhsa_code_object_version 6
	.protected	bluestein_single_back_len1445_dim1_dp_op_CI_CI ; -- Begin function bluestein_single_back_len1445_dim1_dp_op_CI_CI
	.globl	bluestein_single_back_len1445_dim1_dp_op_CI_CI
	.p2align	8
	.type	bluestein_single_back_len1445_dim1_dp_op_CI_CI,@function
bluestein_single_back_len1445_dim1_dp_op_CI_CI: ; @bluestein_single_back_len1445_dim1_dp_op_CI_CI
; %bb.0:
	s_mov_b64 s[62:63], s[2:3]
	s_mov_b64 s[60:61], s[0:1]
	s_load_dwordx4 s[0:3], s[4:5], 0x28
	v_mul_u32_u24_e32 v1, 0x304, v0
	v_add_u32_sdwa v4, s6, v1 dst_sel:DWORD dst_unused:UNUSED_PAD src0_sel:DWORD src1_sel:WORD_1
	v_mov_b32_e32 v5, 0
	s_add_u32 s60, s60, s7
	s_waitcnt lgkmcnt(0)
	v_cmp_gt_u64_e32 vcc, s[0:1], v[4:5]
	s_addc_u32 s61, s61, 0
	s_and_saveexec_b64 s[0:1], vcc
	s_cbranch_execz .LBB0_10
; %bb.1:
	s_load_dwordx4 s[8:11], s[4:5], 0x18
	s_load_dwordx4 s[12:15], s[4:5], 0x0
	s_movk_i32 s0, 0x55
	v_mul_lo_u16_sdwa v1, v1, s0 dst_sel:DWORD dst_unused:UNUSED_PAD src0_sel:WORD_1 src1_sel:DWORD
	v_sub_u16_e32 v148, v0, v1
	s_waitcnt lgkmcnt(0)
	s_load_dwordx4 s[16:19], s[8:9], 0x0
	v_mov_b32_e32 v5, v4
	buffer_store_dword v5, off, s[60:63], 0 offset:52 ; 4-byte Folded Spill
	s_nop 0
	buffer_store_dword v6, off, s[60:63], 0 offset:56 ; 4-byte Folded Spill
	v_lshlrev_b32_e32 v38, 4, v148
	s_mov_b32 s28, 0x5d8e7cdc
	s_waitcnt lgkmcnt(0)
	v_mad_u64_u32 v[0:1], s[0:1], s18, v4, 0
	v_mad_u64_u32 v[2:3], s[0:1], s16, v148, 0
	s_mul_hi_u32 s6, s16, 0x550
	s_mov_b32 s29, 0xbfd71e95
	v_mad_u64_u32 v[4:5], s[0:1], s19, v4, v[1:2]
	s_mov_b32 s22, 0x370991
	s_mov_b32 s34, 0x4363dd80
	v_mad_u64_u32 v[5:6], s[0:1], s17, v148, v[3:4]
	v_mov_b32_e32 v1, v4
	v_lshlrev_b64 v[0:1], 4, v[0:1]
	v_mov_b32_e32 v6, s3
	v_mov_b32_e32 v3, v5
	v_add_co_u32_e32 v4, vcc, s2, v0
	v_addc_co_u32_e32 v5, vcc, v6, v1, vcc
	v_lshlrev_b64 v[0:1], 4, v[2:3]
	v_mov_b32_e32 v6, s13
	v_add_co_u32_e32 v4, vcc, v4, v0
	v_addc_co_u32_e32 v5, vcc, v5, v1, vcc
	global_load_dwordx4 v[74:77], v38, s[12:13]
	global_load_dwordx4 v[0:3], v[4:5], off
	v_add_co_u32_e64 v216, s[0:1], s12, v38
	s_movk_i32 s2, 0x1000
	s_movk_i32 s3, 0x2000
	v_addc_co_u32_e64 v73, vcc, 0, v6, s[0:1]
	v_add_co_u32_e32 v6, vcc, s2, v216
	v_add_co_u32_e64 v36, s[2:3], s3, v216
	v_addc_co_u32_e32 v7, vcc, 0, v73, vcc
	v_addc_co_u32_e64 v37, vcc, 0, v73, s[2:3]
	s_mul_i32 s3, s17, 0x550
	s_mul_i32 s2, s16, 0x550
	s_add_i32 s3, s6, s3
	global_load_dwordx4 v[141:144], v38, s[12:13] offset:1360
	global_load_dwordx4 v[137:140], v38, s[12:13] offset:2720
	global_load_dwordx4 v[133:136], v38, s[12:13] offset:4080
	global_load_dwordx4 v[129:132], v[6:7], off offset:1344
	global_load_dwordx4 v[113:116], v[6:7], off offset:2704
	;; [unrolled: 1-line block ×3, first 2 shown]
	v_mov_b32_e32 v6, s3
	v_add_co_u32_e32 v7, vcc, s2, v4
	v_addc_co_u32_e32 v8, vcc, v5, v6, vcc
	v_mov_b32_e32 v10, s3
	v_add_co_u32_e32 v9, vcc, s2, v7
	v_addc_co_u32_e32 v10, vcc, v8, v10, vcc
	;; [unrolled: 3-line block ×9, first 2 shown]
	global_load_dwordx4 v[4:7], v[7:8], off
	s_movk_i32 s6, 0x3000
	global_load_dwordx4 v[12:15], v[15:16], off
	v_mov_b32_e32 v47, s3
	global_load_dwordx4 v[8:11], v[9:10], off
	v_mov_b32_e32 v51, s3
	;; [unrolled: 2-line block ×4, first 2 shown]
	global_load_dwordx4 v[24:27], v[27:28], off
	s_mov_b32 s23, 0x3fedd6d0
	global_load_dwordx4 v[28:31], v[31:32], off
	s_mov_b32 s35, 0xbfe0d888
	global_load_dwordx4 v[32:35], v[39:40], off
	global_load_dwordx4 v[125:128], v[36:37], off offset:1328
	global_load_dwordx4 v[105:108], v[36:37], off offset:2688
	s_nop 0
	global_load_dwordx4 v[39:42], v[43:44], off
	global_load_dwordx4 v[97:100], v[36:37], off offset:4048
	v_mov_b32_e32 v37, s3
	v_add_co_u32_e32 v36, vcc, s2, v43
	v_addc_co_u32_e32 v37, vcc, v44, v37, vcc
	v_add_co_u32_e32 v55, vcc, s6, v216
	v_addc_co_u32_e32 v56, vcc, 0, v73, vcc
	global_load_dwordx4 v[43:46], v[36:37], off
	v_add_co_u32_e32 v36, vcc, s2, v36
	v_addc_co_u32_e32 v37, vcc, v37, v47, vcc
	global_load_dwordx4 v[47:50], v[36:37], off
	global_load_dwordx4 v[121:124], v[55:56], off offset:1312
	global_load_dwordx4 v[101:104], v[55:56], off offset:2672
	v_add_co_u32_e32 v36, vcc, s2, v36
	v_addc_co_u32_e32 v37, vcc, v37, v51, vcc
	global_load_dwordx4 v[51:54], v[36:37], off
	global_load_dwordx4 v[89:92], v[55:56], off offset:4032
	v_mov_b32_e32 v55, s3
	v_add_co_u32_e32 v36, vcc, s2, v36
	v_addc_co_u32_e32 v37, vcc, v37, v55, vcc
	s_movk_i32 s6, 0x4000
	v_add_co_u32_e32 v67, vcc, s6, v216
	v_addc_co_u32_e32 v68, vcc, 0, v73, vcc
	s_waitcnt vmcnt(24)
	v_mul_f64 v[71:72], v[2:3], v[76:77]
	global_load_dwordx4 v[55:58], v[36:37], off
	v_add_co_u32_e32 v36, vcc, s2, v36
	v_addc_co_u32_e32 v37, vcc, v37, v59, vcc
	global_load_dwordx4 v[59:62], v[36:37], off
	global_load_dwordx4 v[117:120], v[67:68], off offset:1296
	global_load_dwordx4 v[93:96], v[67:68], off offset:2656
	v_add_co_u32_e32 v36, vcc, s2, v36
	v_addc_co_u32_e32 v37, vcc, v37, v63, vcc
	global_load_dwordx4 v[63:66], v[36:37], off
	global_load_dwordx4 v[81:84], v[67:68], off offset:4016
	v_mov_b32_e32 v67, s3
	v_add_co_u32_e32 v36, vcc, s2, v36
	v_addc_co_u32_e32 v37, vcc, v37, v67, vcc
	s_movk_i32 s2, 0x5000
	global_load_dwordx4 v[67:70], v[36:37], off
	v_add_co_u32_e32 v36, vcc, s2, v216
	v_addc_co_u32_e32 v37, vcc, 0, v73, vcc
	global_load_dwordx4 v[109:112], v[36:37], off offset:1280
	v_mul_f64 v[36:37], v[0:1], v[76:77]
	v_fma_f64 v[0:1], v[0:1], v[74:75], v[71:72]
	buffer_store_dword v74, off, s[60:63], 0 offset:60 ; 4-byte Folded Spill
	s_nop 0
	buffer_store_dword v75, off, s[60:63], 0 offset:64 ; 4-byte Folded Spill
	buffer_store_dword v76, off, s[60:63], 0 offset:68 ; 4-byte Folded Spill
	;; [unrolled: 1-line block ×3, first 2 shown]
	s_load_dwordx4 s[8:11], s[10:11], 0x0
	s_mov_b32 s44, 0x2a9d6da3
	s_mov_b32 s50, 0x7c9e640b
	;; [unrolled: 1-line block ×9, first 2 shown]
	s_waitcnt vmcnt(27)
	v_mul_f64 v[71:72], v[8:9], v[139:140]
	s_mov_b32 s41, 0xbfefdd0d
	s_waitcnt vmcnt(26)
	v_mul_f64 v[77:78], v[18:19], v[131:132]
	v_mul_f64 v[79:80], v[16:17], v[131:132]
	s_mov_b32 s21, 0xbfeec746
	s_mov_b32 s27, 0xbfe9895b
	;; [unrolled: 1-line block ×4, first 2 shown]
	s_load_dwordx2 s[2:3], s[4:5], 0x38
	s_mov_b32 s16, 0x75d4884
	s_mov_b32 s6, 0x2b2883cd
	;; [unrolled: 1-line block ×24, first 2 shown]
	v_cmp_gt_u16_e32 vcc, 34, v148
	v_fma_f64 v[2:3], v[2:3], v[74:75], -v[36:37]
	v_mul_f64 v[36:37], v[10:11], v[139:140]
	v_mul_f64 v[73:74], v[14:15], v[135:136]
	;; [unrolled: 1-line block ×3, first 2 shown]
	ds_write_b128 v38, v[0:3]
	v_mul_f64 v[0:1], v[6:7], v[143:144]
	v_mul_f64 v[2:3], v[4:5], v[143:144]
	v_fma_f64 v[0:1], v[4:5], v[141:142], v[0:1]
	buffer_store_dword v141, off, s[60:63], 0 offset:316 ; 4-byte Folded Spill
	s_nop 0
	buffer_store_dword v142, off, s[60:63], 0 offset:320 ; 4-byte Folded Spill
	buffer_store_dword v143, off, s[60:63], 0 offset:324 ; 4-byte Folded Spill
	buffer_store_dword v144, off, s[60:63], 0 offset:328 ; 4-byte Folded Spill
	v_fma_f64 v[4:5], v[8:9], v[137:138], v[36:37]
	buffer_store_dword v137, off, s[60:63], 0 offset:300 ; 4-byte Folded Spill
	s_nop 0
	buffer_store_dword v138, off, s[60:63], 0 offset:304 ; 4-byte Folded Spill
	buffer_store_dword v139, off, s[60:63], 0 offset:308 ; 4-byte Folded Spill
	buffer_store_dword v140, off, s[60:63], 0 offset:312 ; 4-byte Folded Spill
	;; [unrolled: 6-line block ×4, first 2 shown]
	s_waitcnt vmcnt(41)
	v_mul_f64 v[16:17], v[22:23], v[115:116]
	s_waitcnt vmcnt(40)
	v_mul_f64 v[36:37], v[26:27], v[87:88]
	;; [unrolled: 2-line block ×4, first 2 shown]
	v_fma_f64 v[16:17], v[20:21], v[113:114], v[16:17]
	v_fma_f64 v[2:3], v[6:7], v[141:142], -v[2:3]
	v_fma_f64 v[6:7], v[10:11], v[137:138], -v[71:72]
	v_mul_f64 v[71:72], v[24:25], v[87:88]
	v_fma_f64 v[10:11], v[14:15], v[133:134], -v[75:76]
	v_mul_f64 v[75:76], v[28:29], v[127:128]
	;; [unrolled: 2-line block ×3, first 2 shown]
	buffer_store_dword v113, off, s[60:63], 0 offset:204 ; 4-byte Folded Spill
	s_nop 0
	buffer_store_dword v114, off, s[60:63], 0 offset:208 ; 4-byte Folded Spill
	buffer_store_dword v115, off, s[60:63], 0 offset:212 ; 4-byte Folded Spill
	;; [unrolled: 1-line block ×3, first 2 shown]
	v_fma_f64 v[20:21], v[24:25], v[85:86], v[36:37]
	buffer_store_dword v85, off, s[60:63], 0 offset:92 ; 4-byte Folded Spill
	s_nop 0
	buffer_store_dword v86, off, s[60:63], 0 offset:96 ; 4-byte Folded Spill
	buffer_store_dword v87, off, s[60:63], 0 offset:100 ; 4-byte Folded Spill
	;; [unrolled: 1-line block ×3, first 2 shown]
	v_fma_f64 v[24:25], v[28:29], v[125:126], v[73:74]
	buffer_store_dword v125, off, s[60:63], 0 offset:252 ; 4-byte Folded Spill
	s_nop 0
	buffer_store_dword v126, off, s[60:63], 0 offset:256 ; 4-byte Folded Spill
	buffer_store_dword v127, off, s[60:63], 0 offset:260 ; 4-byte Folded Spill
	;; [unrolled: 1-line block ×3, first 2 shown]
	v_mul_f64 v[79:80], v[32:33], v[107:108]
	v_fma_f64 v[28:29], v[32:33], v[105:106], v[77:78]
	buffer_store_dword v105, off, s[60:63], 0 offset:172 ; 4-byte Folded Spill
	s_nop 0
	buffer_store_dword v106, off, s[60:63], 0 offset:176 ; 4-byte Folded Spill
	buffer_store_dword v107, off, s[60:63], 0 offset:180 ; 4-byte Folded Spill
	;; [unrolled: 1-line block ×3, first 2 shown]
	v_fma_f64 v[18:19], v[22:23], v[113:114], -v[18:19]
	v_fma_f64 v[22:23], v[26:27], v[85:86], -v[71:72]
	;; [unrolled: 1-line block ×4, first 2 shown]
	ds_write_b128 v38, v[0:3] offset:1360
	ds_write_b128 v38, v[4:7] offset:2720
	;; [unrolled: 1-line block ×8, first 2 shown]
	s_waitcnt vmcnt(50)
	v_mul_f64 v[0:1], v[41:42], v[99:100]
	s_waitcnt vmcnt(47)
	v_mul_f64 v[4:5], v[45:46], v[123:124]
	;; [unrolled: 2-line block ×8, first 2 shown]
	v_mul_f64 v[2:3], v[39:40], v[99:100]
	v_fma_f64 v[0:1], v[39:40], v[97:98], v[0:1]
	buffer_store_dword v97, off, s[60:63], 0 offset:140 ; 4-byte Folded Spill
	s_nop 0
	buffer_store_dword v98, off, s[60:63], 0 offset:144 ; 4-byte Folded Spill
	buffer_store_dword v99, off, s[60:63], 0 offset:148 ; 4-byte Folded Spill
	buffer_store_dword v100, off, s[60:63], 0 offset:152 ; 4-byte Folded Spill
	v_mul_f64 v[6:7], v[43:44], v[123:124]
	v_fma_f64 v[4:5], v[43:44], v[121:122], v[4:5]
	buffer_store_dword v121, off, s[60:63], 0 offset:236 ; 4-byte Folded Spill
	s_nop 0
	buffer_store_dword v122, off, s[60:63], 0 offset:240 ; 4-byte Folded Spill
	buffer_store_dword v123, off, s[60:63], 0 offset:244 ; 4-byte Folded Spill
	buffer_store_dword v124, off, s[60:63], 0 offset:248 ; 4-byte Folded Spill
	;; [unrolled: 7-line block ×8, first 2 shown]
	v_fma_f64 v[2:3], v[41:42], v[97:98], -v[2:3]
	v_fma_f64 v[6:7], v[45:46], v[121:122], -v[6:7]
	;; [unrolled: 1-line block ×8, first 2 shown]
	ds_write_b128 v38, v[0:3] offset:12240
	ds_write_b128 v38, v[4:7] offset:13600
	ds_write_b128 v38, v[8:11] offset:14960
	ds_write_b128 v38, v[12:15] offset:16320
	ds_write_b128 v38, v[16:19] offset:17680
	ds_write_b128 v38, v[20:23] offset:19040
	ds_write_b128 v38, v[24:27] offset:20400
	ds_write_b128 v38, v[28:31] offset:21760
	s_waitcnt vmcnt(0) lgkmcnt(0)
	s_barrier
	ds_read_b128 v[8:11], v38
	ds_read_b128 v[12:15], v38 offset:1360
	ds_read_b128 v[16:19], v38 offset:2720
	;; [unrolled: 1-line block ×5, first 2 shown]
	s_waitcnt lgkmcnt(4)
	v_add_f64 v[0:1], v[8:9], v[12:13]
	v_add_f64 v[2:3], v[10:11], v[14:15]
	ds_read_b128 v[80:83], v38 offset:9520
	ds_read_b128 v[72:75], v38 offset:10880
	;; [unrolled: 1-line block ×6, first 2 shown]
	s_waitcnt lgkmcnt(9)
	v_add_f64 v[0:1], v[0:1], v[16:17]
	v_add_f64 v[2:3], v[2:3], v[18:19]
	s_waitcnt lgkmcnt(8)
	v_add_f64 v[0:1], v[0:1], v[20:21]
	v_add_f64 v[2:3], v[2:3], v[22:23]
	;; [unrolled: 3-line block ×4, first 2 shown]
	ds_read_b128 v[0:3], v38 offset:8160
	s_waitcnt lgkmcnt(0)
	v_add_f64 v[4:5], v[4:5], v[0:1]
	v_add_f64 v[6:7], v[6:7], v[2:3]
	;; [unrolled: 1-line block ×14, first 2 shown]
	ds_read_b128 v[4:7], v38 offset:17680
	ds_read_b128 v[24:27], v38 offset:21760
	s_waitcnt lgkmcnt(0)
	v_add_f64 v[41:42], v[14:15], -v[26:27]
	v_add_f64 v[36:37], v[28:29], v[4:5]
	v_add_f64 v[39:40], v[30:31], v[6:7]
	v_add_f64 v[43:44], v[12:13], -v[24:25]
	ds_read_b128 v[28:31], v38 offset:19040
	ds_read_b128 v[32:35], v38 offset:20400
	v_add_f64 v[12:13], v[12:13], v[24:25]
	v_add_f64 v[14:15], v[14:15], v[26:27]
	s_waitcnt lgkmcnt(0)
	v_mul_f64 v[45:46], v[41:42], s[28:29]
	v_add_f64 v[36:37], v[36:37], v[28:29]
	v_add_f64 v[39:40], v[39:40], v[30:31]
	v_mul_f64 v[47:48], v[43:44], s[28:29]
	v_mul_f64 v[118:119], v[41:42], s[34:35]
	;; [unrolled: 1-line block ×3, first 2 shown]
	v_add_f64 v[130:131], v[18:19], -v[34:35]
	v_add_f64 v[132:133], v[16:17], -v[32:33]
	v_fma_f64 v[49:50], v[12:13], s[22:23], -v[45:46]
	v_add_f64 v[36:37], v[36:37], v[32:33]
	v_add_f64 v[39:40], v[39:40], v[34:35]
	v_fma_f64 v[51:52], v[14:15], s[22:23], v[47:48]
	v_mul_f64 v[61:62], v[41:42], s[40:41]
	v_mul_f64 v[63:64], v[43:44], s[40:41]
	;; [unrolled: 1-line block ×5, first 2 shown]
	v_add_f64 v[68:69], v[36:37], v[24:25]
	v_add_f64 v[70:71], v[39:40], v[26:27]
	;; [unrolled: 1-line block ×4, first 2 shown]
	v_fma_f64 v[36:37], v[12:13], s[22:23], v[45:46]
	v_fma_f64 v[39:40], v[14:15], s[22:23], -v[47:48]
	v_mul_f64 v[45:46], v[41:42], s[44:45]
	v_mul_f64 v[47:48], v[43:44], s[44:45]
	v_mul_f64 v[49:50], v[41:42], s[50:51]
	v_mul_f64 v[51:52], v[43:44], s[50:51]
	v_mul_f64 v[116:117], v[43:44], s[26:27]
	v_fma_f64 v[126:127], v[12:13], s[30:31], -v[118:119]
	v_fma_f64 v[128:129], v[14:15], s[30:31], v[120:121]
	v_fma_f64 v[118:119], v[12:13], s[30:31], v[118:119]
	v_fma_f64 v[120:121], v[14:15], s[30:31], -v[120:121]
	v_mul_f64 v[41:42], v[41:42], s[36:37]
	v_mul_f64 v[43:44], v[43:44], s[36:37]
	v_add_f64 v[16:17], v[16:17], v[32:33]
	v_add_f64 v[18:19], v[18:19], v[34:35]
	v_mul_f64 v[32:33], v[130:131], s[44:45]
	v_mul_f64 v[34:35], v[132:133], s[44:45]
	v_fma_f64 v[53:54], v[12:13], s[16:17], -v[45:46]
	v_fma_f64 v[55:56], v[14:15], s[16:17], v[47:48]
	v_fma_f64 v[45:46], v[12:13], s[16:17], v[45:46]
	v_fma_f64 v[47:48], v[14:15], s[16:17], -v[47:48]
	v_fma_f64 v[57:58], v[12:13], s[6:7], -v[49:50]
	v_fma_f64 v[59:60], v[14:15], s[6:7], v[51:52]
	v_fma_f64 v[49:50], v[12:13], s[6:7], v[49:50]
	v_fma_f64 v[51:52], v[14:15], s[6:7], -v[51:52]
	;; [unrolled: 4-line block ×6, first 2 shown]
	v_add_f64 v[41:42], v[8:9], v[118:119]
	v_add_f64 v[43:44], v[10:11], v[120:121]
	v_fma_f64 v[118:119], v[16:17], s[16:17], -v[32:33]
	v_fma_f64 v[120:121], v[18:19], s[16:17], v[34:35]
	v_add_f64 v[36:37], v[8:9], v[36:37]
	v_add_f64 v[39:40], v[10:11], v[39:40]
	;; [unrolled: 1-line block ×28, first 2 shown]
	v_mul_f64 v[12:13], v[130:131], s[40:41]
	v_mul_f64 v[14:15], v[132:133], s[40:41]
	v_add_f64 v[24:25], v[118:119], v[24:25]
	v_add_f64 v[26:27], v[120:121], v[26:27]
	v_mul_f64 v[118:119], v[130:131], s[26:27]
	v_mul_f64 v[120:121], v[132:133], s[26:27]
	v_fma_f64 v[32:33], v[16:17], s[16:17], v[32:33]
	v_fma_f64 v[34:35], v[18:19], s[16:17], -v[34:35]
	v_fma_f64 v[138:139], v[16:17], s[4:5], -v[12:13]
	v_fma_f64 v[140:141], v[18:19], s[4:5], v[14:15]
	v_fma_f64 v[12:13], v[16:17], s[4:5], v[12:13]
	v_fma_f64 v[14:15], v[18:19], s[4:5], -v[14:15]
	v_fma_f64 v[142:143], v[16:17], s[24:25], -v[118:119]
	v_fma_f64 v[144:145], v[18:19], s[24:25], v[120:121]
	v_add_f64 v[32:33], v[32:33], v[36:37]
	v_add_f64 v[34:35], v[34:35], v[39:40]
	v_add_f64 v[36:37], v[138:139], v[53:54]
	v_add_f64 v[39:40], v[140:141], v[55:56]
	v_add_f64 v[12:13], v[12:13], v[45:46]
	v_add_f64 v[14:15], v[14:15], v[47:48]
	v_add_f64 v[45:46], v[142:143], v[57:58]
	v_add_f64 v[47:48], v[144:145], v[59:60]
	v_mul_f64 v[53:54], v[130:131], s[36:37]
	v_mul_f64 v[55:56], v[132:133], s[36:37]
	;; [unrolled: 1-line block ×4, first 2 shown]
	v_fma_f64 v[118:119], v[16:17], s[24:25], v[118:119]
	v_fma_f64 v[120:121], v[18:19], s[24:25], -v[120:121]
	s_barrier
	v_fma_f64 v[138:139], v[16:17], s[38:39], -v[53:54]
	v_fma_f64 v[140:141], v[18:19], s[38:39], v[55:56]
	v_fma_f64 v[53:54], v[16:17], s[38:39], v[53:54]
	v_fma_f64 v[55:56], v[18:19], s[38:39], -v[55:56]
	v_fma_f64 v[142:143], v[16:17], s[30:31], -v[57:58]
	v_fma_f64 v[144:145], v[18:19], s[30:31], v[59:60]
	v_add_f64 v[49:50], v[118:119], v[49:50]
	v_add_f64 v[51:52], v[120:121], v[51:52]
	;; [unrolled: 1-line block ×8, first 2 shown]
	v_mul_f64 v[110:111], v[130:131], s[52:53]
	v_mul_f64 v[112:113], v[132:133], s[52:53]
	;; [unrolled: 1-line block ×4, first 2 shown]
	v_fma_f64 v[57:58], v[16:17], s[30:31], v[57:58]
	v_fma_f64 v[59:60], v[18:19], s[30:31], -v[59:60]
	v_fma_f64 v[138:139], v[16:17], s[18:19], -v[110:111]
	v_fma_f64 v[140:141], v[18:19], s[18:19], v[112:113]
	v_fma_f64 v[110:111], v[16:17], s[18:19], v[110:111]
	v_fma_f64 v[112:113], v[18:19], s[18:19], -v[112:113]
	v_fma_f64 v[142:143], v[16:17], s[6:7], -v[118:119]
	v_fma_f64 v[144:145], v[18:19], s[6:7], v[120:121]
	v_add_f64 v[57:58], v[57:58], v[65:66]
	v_add_f64 v[59:60], v[59:60], v[104:105]
	;; [unrolled: 1-line block ×4, first 2 shown]
	v_add_f64 v[122:123], v[22:23], -v[30:31]
	v_add_f64 v[124:125], v[20:21], -v[28:29]
	v_add_f64 v[110:111], v[110:111], v[114:115]
	v_add_f64 v[112:113], v[112:113], v[116:117]
	;; [unrolled: 1-line block ×4, first 2 shown]
	v_mul_f64 v[126:127], v[130:131], s[46:47]
	v_mul_f64 v[128:129], v[132:133], s[46:47]
	v_add_f64 v[20:21], v[20:21], v[28:29]
	v_add_f64 v[22:23], v[22:23], v[30:31]
	v_mul_f64 v[28:29], v[122:123], s[50:51]
	v_mul_f64 v[30:31], v[124:125], s[50:51]
	v_fma_f64 v[118:119], v[16:17], s[6:7], v[118:119]
	v_fma_f64 v[120:121], v[18:19], s[6:7], -v[120:121]
	v_fma_f64 v[130:131], v[16:17], s[22:23], -v[126:127]
	v_fma_f64 v[132:133], v[18:19], s[22:23], v[128:129]
	v_fma_f64 v[16:17], v[16:17], s[22:23], v[126:127]
	v_fma_f64 v[18:19], v[18:19], s[22:23], -v[128:129]
	v_fma_f64 v[126:127], v[20:21], s[6:7], -v[28:29]
	v_fma_f64 v[128:129], v[22:23], s[6:7], v[30:31]
	v_add_f64 v[41:42], v[118:119], v[41:42]
	v_add_f64 v[43:44], v[120:121], v[43:44]
	;; [unrolled: 1-line block ×8, first 2 shown]
	v_mul_f64 v[24:25], v[122:123], s[26:27]
	v_mul_f64 v[26:27], v[124:125], s[26:27]
	;; [unrolled: 1-line block ×4, first 2 shown]
	v_fma_f64 v[28:29], v[20:21], s[6:7], v[28:29]
	v_fma_f64 v[30:31], v[22:23], s[6:7], -v[30:31]
	s_mov_b32 s49, 0x3fe58eea
	s_mov_b32 s48, s44
	v_fma_f64 v[130:131], v[20:21], s[24:25], -v[24:25]
	v_fma_f64 v[132:133], v[22:23], s[24:25], v[26:27]
	v_fma_f64 v[24:25], v[20:21], s[24:25], v[24:25]
	v_fma_f64 v[26:27], v[22:23], s[24:25], -v[26:27]
	v_fma_f64 v[134:135], v[20:21], s[38:39], -v[126:127]
	v_fma_f64 v[136:137], v[22:23], s[38:39], v[128:129]
	v_add_f64 v[28:29], v[28:29], v[32:33]
	v_add_f64 v[30:31], v[30:31], v[34:35]
	;; [unrolled: 1-line block ×8, first 2 shown]
	v_mul_f64 v[36:37], v[122:123], s[52:53]
	v_mul_f64 v[39:40], v[124:125], s[52:53]
	v_fma_f64 v[45:46], v[20:21], s[38:39], v[126:127]
	v_fma_f64 v[47:48], v[22:23], s[38:39], -v[128:129]
	v_mul_f64 v[126:127], v[122:123], s[48:49]
	v_mul_f64 v[128:129], v[124:125], s[48:49]
	v_fma_f64 v[130:131], v[20:21], s[18:19], -v[36:37]
	v_fma_f64 v[132:133], v[22:23], s[18:19], v[39:40]
	v_fma_f64 v[36:37], v[20:21], s[18:19], v[36:37]
	v_fma_f64 v[39:40], v[22:23], s[18:19], -v[39:40]
	v_add_f64 v[45:46], v[45:46], v[49:50]
	v_add_f64 v[47:48], v[47:48], v[51:52]
	v_fma_f64 v[49:50], v[20:21], s[16:17], -v[126:127]
	v_fma_f64 v[51:52], v[22:23], s[16:17], v[128:129]
	v_add_f64 v[106:107], v[130:131], v[106:107]
	v_add_f64 v[108:109], v[132:133], v[108:109]
	;; [unrolled: 1-line block ×4, first 2 shown]
	v_mul_f64 v[53:54], v[122:123], s[28:29]
	v_mul_f64 v[55:56], v[124:125], s[28:29]
	v_add_f64 v[49:50], v[49:50], v[61:62]
	v_add_f64 v[51:52], v[51:52], v[63:64]
	v_mul_f64 v[61:62], v[122:123], s[40:41]
	v_mul_f64 v[63:64], v[124:125], s[40:41]
	v_fma_f64 v[126:127], v[20:21], s[16:17], v[126:127]
	v_fma_f64 v[128:129], v[22:23], s[16:17], -v[128:129]
	v_fma_f64 v[130:131], v[20:21], s[22:23], -v[53:54]
	v_fma_f64 v[132:133], v[22:23], s[22:23], v[55:56]
	v_fma_f64 v[53:54], v[20:21], s[22:23], v[53:54]
	v_fma_f64 v[55:56], v[22:23], s[22:23], -v[55:56]
	v_fma_f64 v[134:135], v[20:21], s[4:5], -v[61:62]
	v_fma_f64 v[136:137], v[22:23], s[4:5], v[63:64]
	v_mul_f64 v[122:123], v[122:123], s[34:35]
	v_mul_f64 v[124:125], v[124:125], s[34:35]
	v_fma_f64 v[61:62], v[20:21], s[4:5], v[61:62]
	v_fma_f64 v[63:64], v[22:23], s[4:5], -v[63:64]
	v_add_f64 v[53:54], v[53:54], v[110:111]
	v_add_f64 v[55:56], v[55:56], v[112:113]
	;; [unrolled: 1-line block ×4, first 2 shown]
	v_add_f64 v[114:115], v[102:103], -v[6:7]
	v_add_f64 v[116:117], v[100:101], -v[4:5]
	v_add_f64 v[4:5], v[100:101], v[4:5]
	v_add_f64 v[6:7], v[102:103], v[6:7]
	;; [unrolled: 1-line block ×4, first 2 shown]
	v_fma_f64 v[126:127], v[20:21], s[30:31], -v[122:123]
	v_fma_f64 v[128:129], v[22:23], s[30:31], v[124:125]
	v_mul_f64 v[100:101], v[114:115], s[40:41]
	v_mul_f64 v[102:103], v[116:117], s[40:41]
	v_fma_f64 v[20:21], v[20:21], s[30:31], v[122:123]
	v_fma_f64 v[22:23], v[22:23], s[30:31], -v[124:125]
	v_add_f64 v[41:42], v[61:62], v[41:42]
	v_add_f64 v[43:44], v[63:64], v[43:44]
	;; [unrolled: 1-line block ×4, first 2 shown]
	v_fma_f64 v[61:62], v[4:5], s[4:5], -v[100:101]
	v_fma_f64 v[63:64], v[6:7], s[4:5], v[102:103]
	v_add_f64 v[8:9], v[20:21], v[8:9]
	v_add_f64 v[10:11], v[22:23], v[10:11]
	v_mul_f64 v[20:21], v[114:115], s[36:37]
	v_mul_f64 v[22:23], v[116:117], s[36:37]
	v_add_f64 v[104:105], v[132:133], v[104:105]
	v_add_f64 v[65:66], v[130:131], v[65:66]
	;; [unrolled: 1-line block ×4, first 2 shown]
	v_fma_f64 v[61:62], v[4:5], s[4:5], v[100:101]
	v_fma_f64 v[63:64], v[6:7], s[4:5], -v[102:103]
	v_mul_f64 v[100:101], v[114:115], s[52:53]
	v_mul_f64 v[102:103], v[116:117], s[52:53]
	v_fma_f64 v[122:123], v[4:5], s[38:39], -v[20:21]
	v_fma_f64 v[124:125], v[6:7], s[38:39], v[22:23]
	v_fma_f64 v[20:21], v[4:5], s[38:39], v[20:21]
	v_fma_f64 v[22:23], v[6:7], s[38:39], -v[22:23]
	v_add_f64 v[28:29], v[61:62], v[28:29]
	v_add_f64 v[30:31], v[63:64], v[30:31]
	v_fma_f64 v[61:62], v[4:5], s[18:19], -v[100:101]
	v_fma_f64 v[63:64], v[6:7], s[18:19], v[102:103]
	v_add_f64 v[32:33], v[122:123], v[32:33]
	v_add_f64 v[34:35], v[124:125], v[34:35]
	;; [unrolled: 1-line block ×4, first 2 shown]
	v_mul_f64 v[20:21], v[114:115], s[46:47]
	v_mul_f64 v[22:23], v[116:117], s[46:47]
	v_add_f64 v[24:25], v[61:62], v[24:25]
	v_add_f64 v[26:27], v[63:64], v[26:27]
	v_mul_f64 v[61:62], v[114:115], s[50:51]
	v_mul_f64 v[63:64], v[116:117], s[50:51]
	v_fma_f64 v[100:101], v[4:5], s[18:19], v[100:101]
	v_fma_f64 v[102:103], v[6:7], s[18:19], -v[102:103]
	v_fma_f64 v[122:123], v[4:5], s[22:23], -v[20:21]
	v_fma_f64 v[124:125], v[6:7], s[22:23], v[22:23]
	v_fma_f64 v[20:21], v[4:5], s[22:23], v[20:21]
	v_fma_f64 v[22:23], v[6:7], s[22:23], -v[22:23]
	v_fma_f64 v[126:127], v[4:5], s[6:7], -v[61:62]
	v_fma_f64 v[128:129], v[6:7], s[6:7], v[63:64]
	v_add_f64 v[45:46], v[100:101], v[45:46]
	v_add_f64 v[47:48], v[102:103], v[47:48]
	;; [unrolled: 1-line block ×8, first 2 shown]
	v_mul_f64 v[49:50], v[114:115], s[34:35]
	v_mul_f64 v[51:52], v[116:117], s[34:35]
	v_fma_f64 v[61:62], v[4:5], s[6:7], v[61:62]
	v_fma_f64 v[63:64], v[6:7], s[6:7], -v[63:64]
	v_mul_f64 v[106:107], v[114:115], s[56:57]
	v_mul_f64 v[108:109], v[116:117], s[56:57]
	v_fma_f64 v[122:123], v[4:5], s[30:31], -v[49:50]
	v_fma_f64 v[124:125], v[6:7], s[30:31], v[51:52]
	v_fma_f64 v[49:50], v[4:5], s[30:31], v[49:50]
	v_fma_f64 v[51:52], v[6:7], s[30:31], -v[51:52]
	v_add_f64 v[57:58], v[61:62], v[57:58]
	v_add_f64 v[59:60], v[63:64], v[59:60]
	v_fma_f64 v[61:62], v[4:5], s[24:25], -v[106:107]
	v_fma_f64 v[63:64], v[6:7], s[24:25], v[108:109]
	v_fma_f64 v[106:107], v[4:5], s[24:25], v[106:107]
	v_fma_f64 v[108:109], v[6:7], s[24:25], -v[108:109]
	v_add_f64 v[49:50], v[49:50], v[53:54]
	v_add_f64 v[51:52], v[51:52], v[55:56]
	v_mul_f64 v[53:54], v[114:115], s[48:49]
	v_mul_f64 v[55:56], v[116:117], s[48:49]
	v_add_f64 v[61:62], v[61:62], v[110:111]
	v_add_f64 v[63:64], v[63:64], v[112:113]
	v_add_f64 v[110:111], v[94:95], -v[98:99]
	v_add_f64 v[112:113], v[92:93], -v[96:97]
	v_add_f64 v[92:93], v[92:93], v[96:97]
	v_add_f64 v[94:95], v[94:95], v[98:99]
	v_fma_f64 v[114:115], v[4:5], s[16:17], -v[53:54]
	v_fma_f64 v[116:117], v[6:7], s[16:17], v[55:56]
	v_fma_f64 v[4:5], v[4:5], s[16:17], v[53:54]
	v_fma_f64 v[6:7], v[6:7], s[16:17], -v[55:56]
	v_mul_f64 v[96:97], v[110:111], s[20:21]
	v_mul_f64 v[98:99], v[112:113], s[20:21]
	v_add_f64 v[41:42], v[106:107], v[41:42]
	v_add_f64 v[43:44], v[108:109], v[43:44]
	;; [unrolled: 1-line block ×6, first 2 shown]
	v_fma_f64 v[106:107], v[92:93], s[18:19], -v[96:97]
	v_fma_f64 v[108:109], v[94:95], s[18:19], v[98:99]
	v_mul_f64 v[8:9], v[110:111], s[54:55]
	v_mul_f64 v[10:11], v[112:113], s[54:55]
	v_fma_f64 v[96:97], v[92:93], s[18:19], v[96:97]
	v_fma_f64 v[98:99], v[94:95], s[18:19], -v[98:99]
	v_add_f64 v[104:105], v[124:125], v[104:105]
	v_add_f64 v[65:66], v[122:123], v[65:66]
	;; [unrolled: 1-line block ×4, first 2 shown]
	v_mul_f64 v[106:107], v[110:111], s[48:49]
	v_mul_f64 v[108:109], v[112:113], s[48:49]
	v_fma_f64 v[114:115], v[92:93], s[30:31], -v[8:9]
	v_fma_f64 v[116:117], v[94:95], s[30:31], v[10:11]
	v_add_f64 v[28:29], v[96:97], v[28:29]
	v_add_f64 v[30:31], v[98:99], v[30:31]
	v_fma_f64 v[8:9], v[92:93], s[30:31], v[8:9]
	v_fma_f64 v[10:11], v[94:95], s[30:31], -v[10:11]
	v_fma_f64 v[96:97], v[92:93], s[16:17], -v[106:107]
	v_fma_f64 v[98:99], v[94:95], s[16:17], v[108:109]
	v_add_f64 v[32:33], v[114:115], v[32:33]
	v_add_f64 v[34:35], v[116:117], v[34:35]
	v_mul_f64 v[114:115], v[110:111], s[50:51]
	v_mul_f64 v[116:117], v[112:113], s[50:51]
	v_add_f64 v[8:9], v[8:9], v[12:13]
	v_add_f64 v[10:11], v[10:11], v[14:15]
	;; [unrolled: 1-line block ×4, first 2 shown]
	v_fma_f64 v[24:25], v[92:93], s[16:17], v[106:107]
	v_fma_f64 v[26:27], v[94:95], s[16:17], -v[108:109]
	v_fma_f64 v[96:97], v[92:93], s[6:7], -v[114:115]
	v_fma_f64 v[98:99], v[94:95], s[6:7], v[116:117]
	v_mul_f64 v[106:107], v[110:111], s[36:37]
	v_mul_f64 v[108:109], v[112:113], s[36:37]
	s_mov_b32 s51, 0x3fefdd0d
	s_mov_b32 s50, s40
	v_fma_f64 v[114:115], v[92:93], s[6:7], v[114:115]
	v_fma_f64 v[116:117], v[94:95], s[6:7], -v[116:117]
	v_add_f64 v[24:25], v[24:25], v[45:46]
	v_add_f64 v[26:27], v[26:27], v[47:48]
	;; [unrolled: 1-line block ×4, first 2 shown]
	v_fma_f64 v[96:97], v[92:93], s[38:39], -v[106:107]
	v_fma_f64 v[98:99], v[94:95], s[38:39], v[108:109]
	v_mul_f64 v[100:101], v[110:111], s[50:51]
	v_mul_f64 v[102:103], v[112:113], s[50:51]
	v_fma_f64 v[106:107], v[92:93], s[38:39], v[106:107]
	v_fma_f64 v[108:109], v[94:95], s[38:39], -v[108:109]
	v_add_f64 v[20:21], v[114:115], v[20:21]
	v_add_f64 v[22:23], v[116:117], v[22:23]
	;; [unrolled: 1-line block ×4, first 2 shown]
	v_mul_f64 v[96:97], v[110:111], s[28:29]
	v_mul_f64 v[98:99], v[112:113], s[28:29]
	v_fma_f64 v[114:115], v[92:93], s[4:5], -v[100:101]
	v_fma_f64 v[116:117], v[94:95], s[4:5], v[102:103]
	v_fma_f64 v[100:101], v[92:93], s[4:5], v[100:101]
	v_fma_f64 v[102:103], v[94:95], s[4:5], -v[102:103]
	v_add_f64 v[57:58], v[106:107], v[57:58]
	v_add_f64 v[59:60], v[108:109], v[59:60]
	v_mul_f64 v[106:107], v[110:111], s[26:27]
	v_mul_f64 v[108:109], v[112:113], s[26:27]
	v_fma_f64 v[118:119], v[92:93], s[22:23], -v[96:97]
	v_fma_f64 v[120:121], v[94:95], s[22:23], v[98:99]
	v_add_f64 v[49:50], v[100:101], v[49:50]
	v_add_f64 v[51:52], v[102:103], v[51:52]
	v_add_f64 v[100:101], v[2:3], -v[90:91]
	v_add_f64 v[102:103], v[0:1], -v[88:89]
	v_fma_f64 v[96:97], v[92:93], s[22:23], v[96:97]
	v_fma_f64 v[98:99], v[94:95], s[22:23], -v[98:99]
	v_fma_f64 v[110:111], v[92:93], s[24:25], -v[106:107]
	v_fma_f64 v[112:113], v[94:95], s[24:25], v[108:109]
	v_fma_f64 v[92:93], v[92:93], s[24:25], v[106:107]
	v_fma_f64 v[94:95], v[94:95], s[24:25], -v[108:109]
	v_add_f64 v[0:1], v[0:1], v[88:89]
	v_add_f64 v[2:3], v[2:3], v[90:91]
	v_mul_f64 v[88:89], v[100:101], s[26:27]
	v_mul_f64 v[90:91], v[102:103], s[26:27]
	v_add_f64 v[41:42], v[96:97], v[41:42]
	v_add_f64 v[43:44], v[98:99], v[43:44]
	;; [unrolled: 1-line block ×4, first 2 shown]
	v_mul_f64 v[92:93], v[100:101], s[52:53]
	v_mul_f64 v[94:95], v[102:103], s[52:53]
	v_fma_f64 v[96:97], v[0:1], s[24:25], -v[88:89]
	v_fma_f64 v[98:99], v[2:3], s[24:25], v[90:91]
	v_fma_f64 v[88:89], v[0:1], s[24:25], v[88:89]
	v_fma_f64 v[90:91], v[2:3], s[24:25], -v[90:91]
	v_add_f64 v[104:105], v[116:117], v[104:105]
	v_add_f64 v[53:54], v[110:111], v[53:54]
	v_fma_f64 v[106:107], v[0:1], s[18:19], -v[92:93]
	v_fma_f64 v[108:109], v[2:3], s[18:19], v[94:95]
	v_fma_f64 v[92:93], v[0:1], s[18:19], v[92:93]
	v_fma_f64 v[94:95], v[2:3], s[18:19], -v[94:95]
	v_add_f64 v[16:17], v[96:97], v[16:17]
	v_add_f64 v[18:19], v[98:99], v[18:19]
	v_mul_f64 v[96:97], v[100:101], s[28:29]
	v_mul_f64 v[98:99], v[102:103], s[28:29]
	v_add_f64 v[28:29], v[88:89], v[28:29]
	v_add_f64 v[30:31], v[90:91], v[30:31]
	;; [unrolled: 1-line block ×4, first 2 shown]
	v_mul_f64 v[92:93], v[100:101], s[34:35]
	v_mul_f64 v[94:95], v[102:103], s[34:35]
	v_fma_f64 v[88:89], v[0:1], s[22:23], -v[96:97]
	v_fma_f64 v[90:91], v[2:3], s[22:23], v[98:99]
	v_add_f64 v[32:33], v[106:107], v[32:33]
	v_add_f64 v[34:35], v[108:109], v[34:35]
	;; [unrolled: 1-line block ×4, first 2 shown]
	v_fma_f64 v[106:107], v[0:1], s[30:31], -v[92:93]
	v_fma_f64 v[108:109], v[2:3], s[30:31], v[94:95]
	v_fma_f64 v[92:93], v[0:1], s[30:31], v[92:93]
	v_fma_f64 v[94:95], v[2:3], s[30:31], -v[94:95]
	v_add_f64 v[12:13], v[88:89], v[12:13]
	v_add_f64 v[14:15], v[90:91], v[14:15]
	v_fma_f64 v[88:89], v[0:1], s[22:23], v[96:97]
	v_fma_f64 v[90:91], v[2:3], s[22:23], -v[98:99]
	v_mul_f64 v[96:97], v[100:101], s[50:51]
	v_mul_f64 v[98:99], v[102:103], s[50:51]
	v_add_f64 v[20:21], v[92:93], v[20:21]
	v_add_f64 v[22:23], v[94:95], v[22:23]
	v_mul_f64 v[92:93], v[100:101], s[44:45]
	v_mul_f64 v[94:95], v[102:103], s[44:45]
	v_add_f64 v[24:25], v[88:89], v[24:25]
	v_add_f64 v[26:27], v[90:91], v[26:27]
	v_fma_f64 v[88:89], v[0:1], s[4:5], -v[96:97]
	v_fma_f64 v[90:91], v[2:3], s[4:5], v[98:99]
	v_add_f64 v[45:46], v[106:107], v[45:46]
	v_add_f64 v[47:48], v[108:109], v[47:48]
	v_fma_f64 v[98:99], v[2:3], s[4:5], -v[98:99]
	v_fma_f64 v[106:107], v[0:1], s[16:17], -v[92:93]
	v_fma_f64 v[108:109], v[2:3], s[16:17], v[94:95]
	v_fma_f64 v[92:93], v[0:1], s[16:17], v[92:93]
	v_fma_f64 v[94:95], v[2:3], s[16:17], -v[94:95]
	v_add_f64 v[36:37], v[88:89], v[36:37]
	v_add_f64 v[39:40], v[90:91], v[39:40]
	v_mul_f64 v[88:89], v[100:101], s[36:37]
	v_mul_f64 v[90:91], v[102:103], s[36:37]
	v_fma_f64 v[96:97], v[0:1], s[4:5], v[96:97]
	v_add_f64 v[59:60], v[98:99], v[59:60]
	v_add_f64 v[49:50], v[92:93], v[49:50]
	;; [unrolled: 1-line block ×3, first 2 shown]
	v_add_f64 v[92:93], v[82:83], -v[86:87]
	v_add_f64 v[94:95], v[80:81], -v[84:85]
	v_mul_f64 v[98:99], v[100:101], s[42:43]
	v_mul_f64 v[100:101], v[102:103], s[42:43]
	v_fma_f64 v[110:111], v[0:1], s[38:39], -v[88:89]
	v_fma_f64 v[112:113], v[2:3], s[38:39], v[90:91]
	v_add_f64 v[57:58], v[96:97], v[57:58]
	v_add_f64 v[96:97], v[108:109], v[104:105]
	v_fma_f64 v[88:89], v[0:1], s[38:39], v[88:89]
	v_fma_f64 v[90:91], v[2:3], s[38:39], -v[90:91]
	v_add_f64 v[80:81], v[80:81], v[84:85]
	v_add_f64 v[82:83], v[82:83], v[86:87]
	v_mul_f64 v[84:85], v[92:93], s[34:35]
	v_mul_f64 v[86:87], v[94:95], s[34:35]
	v_fma_f64 v[102:103], v[0:1], s[6:7], -v[98:99]
	v_fma_f64 v[104:105], v[2:3], s[6:7], v[100:101]
	v_fma_f64 v[0:1], v[0:1], s[6:7], v[98:99]
	v_fma_f64 v[2:3], v[2:3], s[6:7], -v[100:101]
	v_add_f64 v[41:42], v[88:89], v[41:42]
	v_add_f64 v[43:44], v[90:91], v[43:44]
	v_fma_f64 v[88:89], v[80:81], s[30:31], -v[84:85]
	v_fma_f64 v[90:91], v[82:83], s[30:31], v[86:87]
	v_fma_f64 v[84:85], v[80:81], s[30:31], v[84:85]
	v_fma_f64 v[86:87], v[82:83], s[30:31], -v[86:87]
	v_add_f64 v[0:1], v[0:1], v[4:5]
	v_add_f64 v[2:3], v[2:3], v[6:7]
	v_mul_f64 v[4:5], v[92:93], s[42:43]
	v_mul_f64 v[6:7], v[94:95], s[42:43]
	v_add_f64 v[16:17], v[88:89], v[16:17]
	v_add_f64 v[18:19], v[90:91], v[18:19]
	v_mul_f64 v[88:89], v[92:93], s[40:41]
	v_mul_f64 v[90:91], v[94:95], s[40:41]
	v_add_f64 v[28:29], v[84:85], v[28:29]
	v_add_f64 v[30:31], v[86:87], v[30:31]
	v_fma_f64 v[98:99], v[80:81], s[6:7], -v[4:5]
	v_fma_f64 v[100:101], v[82:83], s[6:7], v[6:7]
	v_fma_f64 v[4:5], v[80:81], s[6:7], v[4:5]
	v_fma_f64 v[6:7], v[82:83], s[6:7], -v[6:7]
	v_fma_f64 v[84:85], v[80:81], s[4:5], -v[88:89]
	v_fma_f64 v[86:87], v[82:83], s[4:5], v[90:91]
	v_add_f64 v[61:62], v[118:119], v[61:62]
	v_add_f64 v[65:66], v[106:107], v[65:66]
	;; [unrolled: 1-line block ×6, first 2 shown]
	v_mul_f64 v[4:5], v[92:93], s[56:57]
	v_mul_f64 v[6:7], v[94:95], s[56:57]
	v_add_f64 v[12:13], v[84:85], v[12:13]
	v_add_f64 v[14:15], v[86:87], v[14:15]
	v_fma_f64 v[8:9], v[80:81], s[4:5], v[88:89]
	v_fma_f64 v[10:11], v[82:83], s[4:5], -v[90:91]
	v_mul_f64 v[84:85], v[92:93], s[28:29]
	v_mul_f64 v[86:87], v[94:95], s[28:29]
	v_fma_f64 v[88:89], v[80:81], s[24:25], -v[4:5]
	v_fma_f64 v[90:91], v[82:83], s[24:25], v[6:7]
	v_fma_f64 v[4:5], v[80:81], s[24:25], v[4:5]
	v_fma_f64 v[6:7], v[82:83], s[24:25], -v[6:7]
	v_add_f64 v[24:25], v[8:9], v[24:25]
	v_add_f64 v[26:27], v[10:11], v[26:27]
	v_fma_f64 v[8:9], v[80:81], s[22:23], -v[84:85]
	v_fma_f64 v[10:11], v[82:83], s[22:23], v[86:87]
	v_add_f64 v[45:46], v[88:89], v[45:46]
	v_add_f64 v[47:48], v[90:91], v[47:48]
	;; [unrolled: 1-line block ×4, first 2 shown]
	v_mul_f64 v[4:5], v[92:93], s[36:37]
	v_mul_f64 v[6:7], v[94:95], s[36:37]
	v_add_f64 v[36:37], v[8:9], v[36:37]
	v_add_f64 v[39:40], v[10:11], v[39:40]
	v_fma_f64 v[8:9], v[80:81], s[22:23], v[84:85]
	v_fma_f64 v[10:11], v[82:83], s[22:23], -v[86:87]
	v_mul_f64 v[20:21], v[92:93], s[48:49]
	v_add_f64 v[63:64], v[120:121], v[63:64]
	v_fma_f64 v[84:85], v[80:81], s[38:39], -v[4:5]
	v_fma_f64 v[86:87], v[82:83], s[38:39], v[6:7]
	v_fma_f64 v[4:5], v[80:81], s[38:39], v[4:5]
	v_add_f64 v[61:62], v[110:111], v[61:62]
	v_mul_f64 v[22:23], v[94:95], s[48:49]
	v_fma_f64 v[6:7], v[82:83], s[38:39], -v[6:7]
	v_add_f64 v[57:58], v[8:9], v[57:58]
	v_fma_f64 v[8:9], v[80:81], s[16:17], -v[20:21]
	v_add_f64 v[65:66], v[84:85], v[65:66]
	v_add_f64 v[84:85], v[86:87], v[96:97]
	;; [unrolled: 1-line block ×3, first 2 shown]
	v_mul_f64 v[4:5], v[92:93], s[20:21]
	v_add_f64 v[86:87], v[74:75], -v[78:79]
	v_add_f64 v[63:64], v[112:113], v[63:64]
	v_add_f64 v[53:54], v[102:103], v[53:54]
	;; [unrolled: 1-line block ×3, first 2 shown]
	v_fma_f64 v[10:11], v[82:83], s[16:17], v[22:23]
	v_add_f64 v[51:52], v[6:7], v[51:52]
	v_mul_f64 v[6:7], v[94:95], s[20:21]
	v_add_f64 v[61:62], v[8:9], v[61:62]
	v_add_f64 v[92:93], v[72:73], -v[76:77]
	v_fma_f64 v[8:9], v[80:81], s[16:17], v[20:21]
	v_fma_f64 v[20:21], v[80:81], s[18:19], -v[4:5]
	v_add_f64 v[72:73], v[72:73], v[76:77]
	v_mul_f64 v[76:77], v[86:87], s[36:37]
	v_add_f64 v[55:56], v[104:105], v[55:56]
	v_add_f64 v[63:64], v[10:11], v[63:64]
	v_fma_f64 v[10:11], v[82:83], s[16:17], -v[22:23]
	v_fma_f64 v[22:23], v[82:83], s[18:19], v[6:7]
	v_add_f64 v[74:75], v[74:75], v[78:79]
	v_mul_f64 v[78:79], v[92:93], s[36:37]
	v_add_f64 v[94:95], v[8:9], v[41:42]
	v_add_f64 v[102:103], v[20:21], v[53:54]
	v_fma_f64 v[4:5], v[80:81], s[18:19], v[4:5]
	v_fma_f64 v[8:9], v[72:73], s[38:39], -v[76:77]
	v_mul_f64 v[20:21], v[86:87], s[46:47]
	v_add_f64 v[96:97], v[10:11], v[43:44]
	v_add_f64 v[104:105], v[22:23], v[55:56]
	v_fma_f64 v[6:7], v[82:83], s[18:19], -v[6:7]
	v_fma_f64 v[10:11], v[74:75], s[38:39], v[78:79]
	v_mul_f64 v[22:23], v[92:93], s[46:47]
	v_fma_f64 v[41:42], v[72:73], s[38:39], v[76:77]
	v_add_f64 v[76:77], v[4:5], v[0:1]
	v_add_f64 v[4:5], v[8:9], v[16:17]
	v_fma_f64 v[8:9], v[72:73], s[22:23], -v[20:21]
	v_mul_f64 v[16:17], v[86:87], s[34:35]
	v_fma_f64 v[43:44], v[74:75], s[38:39], -v[78:79]
	v_add_f64 v[78:79], v[6:7], v[2:3]
	v_add_f64 v[6:7], v[10:11], v[18:19]
	v_fma_f64 v[10:11], v[74:75], s[22:23], v[22:23]
	v_mul_f64 v[18:19], v[92:93], s[34:35]
	v_add_f64 v[0:1], v[41:42], v[28:29]
	v_add_f64 v[8:9], v[8:9], v[32:33]
	v_fma_f64 v[32:33], v[72:73], s[30:31], -v[16:17]
	v_fma_f64 v[20:21], v[72:73], s[22:23], v[20:21]
	v_mul_f64 v[28:29], v[86:87], s[48:49]
	v_fma_f64 v[16:17], v[72:73], s[30:31], v[16:17]
	v_add_f64 v[10:11], v[10:11], v[34:35]
	v_fma_f64 v[34:35], v[74:75], s[30:31], v[18:19]
	v_add_f64 v[2:3], v[43:44], v[30:31]
	v_fma_f64 v[22:23], v[74:75], s[22:23], -v[22:23]
	v_add_f64 v[12:13], v[32:33], v[12:13]
	v_mul_f64 v[32:33], v[86:87], s[26:27]
	v_mul_f64 v[30:31], v[92:93], s[48:49]
	v_add_f64 v[144:145], v[20:21], v[98:99]
	v_fma_f64 v[18:19], v[74:75], s[30:31], -v[18:19]
	v_fma_f64 v[20:21], v[72:73], s[16:17], -v[28:29]
	v_add_f64 v[14:15], v[34:35], v[14:15]
	v_mul_f64 v[34:35], v[92:93], s[26:27]
	v_add_f64 v[16:17], v[16:17], v[24:25]
	v_fma_f64 v[24:25], v[72:73], s[16:17], v[28:29]
	v_fma_f64 v[28:29], v[72:73], s[24:25], -v[32:33]
	v_mul_f64 v[41:42], v[86:87], s[42:43]
	v_add_f64 v[146:147], v[22:23], v[100:101]
	v_fma_f64 v[22:23], v[74:75], s[16:17], v[30:31]
	v_add_f64 v[18:19], v[18:19], v[26:27]
	v_fma_f64 v[26:27], v[74:75], s[16:17], -v[30:31]
	v_fma_f64 v[30:31], v[74:75], s[24:25], v[34:35]
	v_mul_f64 v[43:44], v[92:93], s[42:43]
	v_fma_f64 v[32:33], v[72:73], s[24:25], v[32:33]
	v_add_f64 v[28:29], v[28:29], v[36:37]
	v_fma_f64 v[36:37], v[72:73], s[6:7], -v[41:42]
	v_fma_f64 v[34:35], v[74:75], s[24:25], -v[34:35]
	v_add_f64 v[20:21], v[20:21], v[45:46]
	v_add_f64 v[22:23], v[22:23], v[47:48]
	;; [unrolled: 1-line block ×3, first 2 shown]
	v_fma_f64 v[45:46], v[74:75], s[6:7], v[43:44]
	v_add_f64 v[32:33], v[32:33], v[57:58]
	v_fma_f64 v[47:48], v[72:73], s[6:7], v[41:42]
	v_fma_f64 v[53:54], v[74:75], s[6:7], -v[43:44]
	v_mul_f64 v[55:56], v[86:87], s[20:21]
	v_mul_f64 v[57:58], v[92:93], s[20:21]
	v_add_f64 v[40:41], v[36:37], v[65:66]
	v_mul_f64 v[36:37], v[86:87], s[50:51]
	v_add_f64 v[34:35], v[34:35], v[59:60]
	;; [unrolled: 2-line block ×3, first 2 shown]
	v_add_f64 v[44:45], v[47:48], v[49:50]
	v_add_f64 v[46:47], v[53:54], v[51:52]
	v_fma_f64 v[48:49], v[72:73], s[18:19], -v[55:56]
	v_fma_f64 v[50:51], v[74:75], s[18:19], v[57:58]
	v_fma_f64 v[52:53], v[72:73], s[18:19], v[55:56]
	v_fma_f64 v[54:55], v[74:75], s[18:19], -v[57:58]
	v_fma_f64 v[56:57], v[72:73], s[4:5], -v[36:37]
	v_fma_f64 v[36:37], v[72:73], s[4:5], v[36:37]
	v_fma_f64 v[65:66], v[74:75], s[4:5], v[59:60]
	v_fma_f64 v[72:73], v[74:75], s[4:5], -v[59:60]
	v_add_f64 v[48:49], v[48:49], v[61:62]
	v_add_f64 v[50:51], v[50:51], v[63:64]
	;; [unrolled: 1-line block ×6, first 2 shown]
	v_mul_lo_u16_e32 v36, 17, v148
	v_lshlrev_b32_e32 v39, 4, v36
	v_add_f64 v[54:55], v[54:55], v[96:97]
	v_add_f64 v[56:57], v[56:57], v[102:103]
	;; [unrolled: 1-line block ×4, first 2 shown]
	ds_write_b128 v39, v[68:71]
	ds_write_b128 v39, v[4:7] offset:16
	ds_write_b128 v39, v[8:11] offset:32
	;; [unrolled: 1-line block ×16, first 2 shown]
	s_waitcnt lgkmcnt(0)
	s_barrier
	ds_read_b128 v[140:143], v38
	ds_read_b128 v[136:139], v38 offset:1360
	ds_read_b128 v[104:107], v38 offset:9248
	;; [unrolled: 1-line block ×14, first 2 shown]
	buffer_store_dword v148, off, s[60:63], 0 ; 4-byte Folded Spill
                                        ; implicit-def: $vgpr4_vgpr5
                                        ; implicit-def: $vgpr8_vgpr9
                                        ; implicit-def: $vgpr12_vgpr13
	s_and_saveexec_b64 s[4:5], vcc
	s_cbranch_execz .LBB0_3
; %bb.2:
	ds_read_b128 v[144:147], v38 offset:4080
	ds_read_b128 v[0:3], v38 offset:8704
	;; [unrolled: 1-line block ×5, first 2 shown]
.LBB0_3:
	s_or_b64 exec, exec, s[4:5]
	buffer_load_dword v18, off, s[60:63], 0 ; 4-byte Folded Reload
	s_movk_i32 s4, 0xf1
	s_mov_b32 s19, 0xbfee6f0e
	s_mov_b32 s6, 0x4755a5e
	s_mov_b32 s7, 0x3fe2cf23
	s_mov_b32 s21, 0xbfe2cf23
	s_mov_b32 s20, s6
	s_mov_b32 s16, 0x372fe950
	s_mov_b32 s17, 0x3fd3c6ef
	s_waitcnt vmcnt(0)
	v_mul_lo_u16_sdwa v16, v18, s4 dst_sel:DWORD dst_unused:UNUSED_PAD src0_sel:BYTE_0 src1_sel:DWORD
	v_lshrrev_b16_e32 v32, 12, v16
	v_mul_lo_u16_e32 v16, 17, v32
	v_sub_u16_e32 v16, v18, v16
	v_and_b32_e32 v33, 0xff, v16
	v_lshlrev_b32_e32 v16, 6, v33
	global_load_dwordx4 v[84:87], v16, s[14:15] offset:48
	global_load_dwordx4 v[88:91], v16, s[14:15] offset:32
	global_load_dwordx4 v[92:95], v16, s[14:15] offset:16
	global_load_dwordx4 v[96:99], v16, s[14:15]
	v_mul_u32_u24_e32 v32, 0x55, v32
	v_add_lshl_u32 v32, v32, v33, 4
	s_waitcnt vmcnt(0) lgkmcnt(8)
	v_mul_f64 v[16:17], v[114:115], v[98:99]
	v_fma_f64 v[24:25], v[112:113], v[96:97], -v[16:17]
	v_mul_f64 v[16:17], v[112:113], v[98:99]
	v_fma_f64 v[20:21], v[114:115], v[96:97], v[16:17]
	v_mul_f64 v[16:17], v[106:107], v[94:95]
	v_fma_f64 v[26:27], v[104:105], v[92:93], -v[16:17]
	v_mul_f64 v[16:17], v[104:105], v[94:95]
	v_fma_f64 v[22:23], v[106:107], v[92:93], v[16:17]
	s_waitcnt lgkmcnt(4)
	v_mul_f64 v[16:17], v[110:111], v[90:91]
	v_fma_f64 v[28:29], v[108:109], v[88:89], -v[16:17]
	v_mul_f64 v[16:17], v[108:109], v[90:91]
	v_fma_f64 v[162:163], v[110:111], v[88:89], v[16:17]
	v_mul_f64 v[16:17], v[102:103], v[86:87]
	v_fma_f64 v[30:31], v[100:101], v[84:85], -v[16:17]
	v_mul_f64 v[16:17], v[100:101], v[86:87]
	v_fma_f64 v[164:165], v[102:103], v[84:85], v[16:17]
	v_add_u16_e32 v16, 0x55, v18
	v_mul_lo_u16_sdwa v17, v16, s4 dst_sel:DWORD dst_unused:UNUSED_PAD src0_sel:BYTE_0 src1_sel:DWORD
	v_lshrrev_b16_e32 v34, 12, v17
	v_mul_lo_u16_e32 v17, 17, v34
	v_sub_u16_e32 v16, v16, v17
	v_and_b32_e32 v35, 0xff, v16
	v_lshlrev_b32_e32 v16, 6, v35
	global_load_dwordx4 v[100:103], v16, s[14:15] offset:48
	global_load_dwordx4 v[104:107], v16, s[14:15] offset:32
	;; [unrolled: 1-line block ×3, first 2 shown]
	global_load_dwordx4 v[112:115], v16, s[14:15]
	s_waitcnt vmcnt(0)
	v_mul_f64 v[16:17], v[130:131], v[114:115]
	v_fma_f64 v[170:171], v[128:129], v[112:113], -v[16:17]
	v_mul_f64 v[16:17], v[128:129], v[114:115]
	v_fma_f64 v[178:179], v[130:131], v[112:113], v[16:17]
	v_mul_f64 v[16:17], v[122:123], v[110:111]
	v_fma_f64 v[174:175], v[120:121], v[108:109], -v[16:17]
	v_mul_f64 v[16:17], v[120:121], v[110:111]
	v_fma_f64 v[182:183], v[122:123], v[108:109], v[16:17]
	s_waitcnt lgkmcnt(2)
	v_mul_f64 v[16:17], v[126:127], v[106:107]
	v_fma_f64 v[208:209], v[124:125], v[104:105], -v[16:17]
	v_mul_f64 v[16:17], v[124:125], v[106:107]
	v_fma_f64 v[204:205], v[126:127], v[104:105], v[16:17]
	v_mul_f64 v[16:17], v[118:119], v[102:103]
	v_fma_f64 v[210:211], v[116:117], v[100:101], -v[16:17]
	v_mul_f64 v[16:17], v[116:117], v[102:103]
	v_fma_f64 v[206:207], v[118:119], v[100:101], v[16:17]
	v_add_u16_e32 v16, 0xaa, v18
	v_mul_lo_u16_sdwa v17, v16, s4 dst_sel:DWORD dst_unused:UNUSED_PAD src0_sel:BYTE_0 src1_sel:DWORD
	v_lshrrev_b16_e32 v36, 12, v17
	v_mul_lo_u16_e32 v17, 17, v36
	v_sub_u16_e32 v16, v16, v17
	v_and_b32_e32 v37, 0xff, v16
	v_lshlrev_b32_e32 v16, 6, v37
	global_load_dwordx4 v[116:119], v16, s[14:15] offset:48
	global_load_dwordx4 v[120:123], v16, s[14:15] offset:32
	;; [unrolled: 1-line block ×3, first 2 shown]
	global_load_dwordx4 v[128:131], v16, s[14:15]
	s_mov_b32 s4, 0x134454ff
	s_mov_b32 s5, 0x3fee6f0e
	;; [unrolled: 1-line block ×3, first 2 shown]
	s_waitcnt vmcnt(0)
	v_mul_f64 v[16:17], v[82:83], v[130:131]
	v_fma_f64 v[200:201], v[80:81], v[128:129], -v[16:17]
	v_mul_f64 v[16:17], v[80:81], v[130:131]
	v_fma_f64 v[188:189], v[82:83], v[128:129], v[16:17]
	v_mul_f64 v[16:17], v[78:79], v[126:127]
	v_fma_f64 v[196:197], v[76:77], v[124:125], -v[16:17]
	v_mul_f64 v[16:17], v[76:77], v[126:127]
	v_fma_f64 v[190:191], v[78:79], v[124:125], v[16:17]
	s_waitcnt lgkmcnt(1)
	v_mul_f64 v[16:17], v[74:75], v[122:123]
	v_fma_f64 v[198:199], v[72:73], v[120:121], -v[16:17]
	v_mul_f64 v[16:17], v[72:73], v[122:123]
	v_fma_f64 v[192:193], v[74:75], v[120:121], v[16:17]
	s_waitcnt lgkmcnt(0)
	v_mul_f64 v[16:17], v[70:71], v[118:119]
	v_fma_f64 v[202:203], v[68:69], v[116:117], -v[16:17]
	v_mul_f64 v[16:17], v[68:69], v[118:119]
	v_fma_f64 v[194:195], v[70:71], v[116:117], v[16:17]
	v_add_u16_e32 v16, 0xff, v18
	v_mul_u32_u24_e32 v17, 0xf0f1, v16
	v_lshrrev_b32_e32 v17, 20, v17
	buffer_store_dword v17, off, s[60:63], 0 offset:332 ; 4-byte Folded Spill
	v_mul_lo_u16_e32 v17, 17, v17
	v_sub_u16_e32 v16, v16, v17
	buffer_store_dword v16, off, s[60:63], 0 offset:336 ; 4-byte Folded Spill
	v_lshlrev_b16_e32 v16, 2, v16
	v_lshlrev_b32_e32 v16, 4, v16
	global_load_dwordx4 v[40:43], v16, s[14:15] offset:48
	global_load_dwordx4 v[44:47], v16, s[14:15] offset:32
	;; [unrolled: 1-line block ×3, first 2 shown]
	global_load_dwordx4 v[80:83], v16, s[14:15]
	s_waitcnt vmcnt(0)
	v_mul_f64 v[16:17], v[2:3], v[82:83]
	v_fma_f64 v[18:19], v[0:1], v[80:81], -v[16:17]
	v_mul_f64 v[0:1], v[0:1], v[82:83]
	v_fma_f64 v[186:187], v[2:3], v[80:81], v[0:1]
	v_mul_f64 v[0:1], v[6:7], v[78:79]
	v_add_f64 v[2:3], v[20:21], -v[164:165]
	v_fma_f64 v[16:17], v[4:5], v[76:77], -v[0:1]
	v_mul_f64 v[0:1], v[4:5], v[78:79]
	v_fma_f64 v[184:185], v[6:7], v[76:77], v[0:1]
	v_mul_f64 v[0:1], v[10:11], v[46:47]
	v_fma_f64 v[4:5], v[8:9], v[44:45], -v[0:1]
	v_mul_f64 v[0:1], v[8:9], v[46:47]
	buffer_store_dword v44, off, s[60:63], 0 offset:368 ; 4-byte Folded Spill
	s_nop 0
	buffer_store_dword v45, off, s[60:63], 0 offset:372 ; 4-byte Folded Spill
	buffer_store_dword v46, off, s[60:63], 0 offset:376 ; 4-byte Folded Spill
	buffer_store_dword v47, off, s[60:63], 0 offset:380 ; 4-byte Folded Spill
	v_fma_f64 v[8:9], v[10:11], v[44:45], v[0:1]
	v_mul_f64 v[0:1], v[14:15], v[42:43]
	v_fma_f64 v[6:7], v[12:13], v[40:41], -v[0:1]
	v_mul_f64 v[0:1], v[12:13], v[42:43]
	buffer_store_dword v40, off, s[60:63], 0 offset:352 ; 4-byte Folded Spill
	s_nop 0
	buffer_store_dword v41, off, s[60:63], 0 offset:356 ; 4-byte Folded Spill
	buffer_store_dword v42, off, s[60:63], 0 offset:360 ; 4-byte Folded Spill
	;; [unrolled: 1-line block ×3, first 2 shown]
	v_add_f64 v[42:43], v[30:31], -v[28:29]
	v_fma_f64 v[10:11], v[14:15], v[40:41], v[0:1]
	v_add_f64 v[0:1], v[140:141], v[24:25]
	v_add_f64 v[14:15], v[22:23], -v[162:163]
	v_add_f64 v[40:41], v[24:25], -v[26:27]
	v_add_f64 v[60:61], v[10:11], -v[8:9]
	v_add_f64 v[0:1], v[0:1], v[26:27]
	v_add_f64 v[66:67], v[8:9], -v[10:11]
	v_add_f64 v[40:41], v[40:41], v[42:43]
	v_add_f64 v[42:43], v[28:29], -v[30:31]
	v_add_f64 v[0:1], v[0:1], v[28:29]
	v_add_f64 v[148:149], v[0:1], v[30:31]
	;; [unrolled: 1-line block ×3, first 2 shown]
	v_fma_f64 v[0:1], v[0:1], -0.5, v[140:141]
	v_fma_f64 v[12:13], v[2:3], s[4:5], v[0:1]
	v_fma_f64 v[0:1], v[2:3], s[18:19], v[0:1]
	;; [unrolled: 1-line block ×6, first 2 shown]
	v_add_f64 v[0:1], v[24:25], v[30:31]
	v_add_f64 v[40:41], v[26:27], -v[24:25]
	v_fma_f64 v[0:1], v[0:1], -0.5, v[140:141]
	v_add_f64 v[40:41], v[40:41], v[42:43]
	v_fma_f64 v[12:13], v[14:15], s[18:19], v[0:1]
	v_fma_f64 v[0:1], v[14:15], s[4:5], v[0:1]
	;; [unrolled: 1-line block ×4, first 2 shown]
	v_add_f64 v[2:3], v[142:143], v[20:21]
	v_fma_f64 v[160:161], v[40:41], s[16:17], v[12:13]
	v_add_f64 v[12:13], v[24:25], -v[30:31]
	v_add_f64 v[2:3], v[2:3], v[22:23]
	v_add_f64 v[24:25], v[26:27], -v[28:29]
	v_add_f64 v[26:27], v[20:21], -v[22:23]
	v_add_f64 v[28:29], v[164:165], -v[162:163]
	v_fma_f64 v[0:1], v[40:41], s[16:17], v[0:1]
	v_add_f64 v[30:31], v[4:5], -v[6:7]
	v_add_f64 v[2:3], v[2:3], v[162:163]
	v_add_f64 v[26:27], v[26:27], v[28:29]
	v_add_f64 v[28:29], v[16:17], -v[18:19]
	v_add_f64 v[150:151], v[2:3], v[164:165]
	v_add_f64 v[2:3], v[22:23], v[162:163]
	;; [unrolled: 1-line block ×3, first 2 shown]
	v_add_f64 v[30:31], v[18:19], -v[6:7]
	v_fma_f64 v[2:3], v[2:3], -0.5, v[142:143]
	v_fma_f64 v[14:15], v[12:13], s[18:19], v[2:3]
	v_fma_f64 v[2:3], v[12:13], s[4:5], v[2:3]
	v_fma_f64 v[14:15], v[24:25], s[20:21], v[14:15]
	v_fma_f64 v[2:3], v[24:25], s[6:7], v[2:3]
	v_fma_f64 v[154:155], v[26:27], s[16:17], v[14:15]
	v_fma_f64 v[158:159], v[26:27], s[16:17], v[2:3]
	v_add_f64 v[2:3], v[20:21], v[164:165]
	v_add_f64 v[20:21], v[22:23], -v[20:21]
	v_add_f64 v[22:23], v[162:163], -v[164:165]
	;; [unrolled: 1-line block ×3, first 2 shown]
	v_fma_f64 v[2:3], v[2:3], -0.5, v[142:143]
	v_add_f64 v[20:21], v[20:21], v[22:23]
	v_add_f64 v[22:23], v[182:183], -v[204:205]
	v_fma_f64 v[14:15], v[24:25], s[4:5], v[2:3]
	v_fma_f64 v[2:3], v[24:25], s[18:19], v[2:3]
	v_add_f64 v[24:25], v[170:171], -v[174:175]
	v_fma_f64 v[14:15], v[12:13], s[20:21], v[14:15]
	v_fma_f64 v[2:3], v[12:13], s[6:7], v[2:3]
	v_add_f64 v[12:13], v[136:137], v[170:171]
	v_add_f64 v[24:25], v[24:25], v[26:27]
	v_add_f64 v[26:27], v[208:209], -v[210:211]
	v_fma_f64 v[162:163], v[20:21], s[16:17], v[14:15]
	v_add_f64 v[14:15], v[178:179], -v[206:207]
	v_add_f64 v[12:13], v[12:13], v[174:175]
	v_fma_f64 v[2:3], v[20:21], s[16:17], v[2:3]
	v_add_f64 v[12:13], v[12:13], v[208:209]
	v_add_f64 v[164:165], v[12:13], v[210:211]
	v_add_f64 v[12:13], v[174:175], v[208:209]
	v_fma_f64 v[12:13], v[12:13], -0.5, v[136:137]
	v_fma_f64 v[20:21], v[14:15], s[4:5], v[12:13]
	v_fma_f64 v[12:13], v[14:15], s[18:19], v[12:13]
	v_fma_f64 v[20:21], v[22:23], s[6:7], v[20:21]
	v_fma_f64 v[12:13], v[22:23], s[20:21], v[12:13]
	v_fma_f64 v[172:173], v[24:25], s[16:17], v[20:21]
	v_fma_f64 v[168:169], v[24:25], s[16:17], v[12:13]
	v_add_f64 v[12:13], v[170:171], v[210:211]
	v_add_f64 v[24:25], v[174:175], -v[170:171]
	v_fma_f64 v[12:13], v[12:13], -0.5, v[136:137]
	v_add_f64 v[24:25], v[24:25], v[26:27]
	v_add_f64 v[26:27], v[206:207], -v[204:205]
	v_fma_f64 v[20:21], v[22:23], s[18:19], v[12:13]
	v_fma_f64 v[12:13], v[22:23], s[4:5], v[12:13]
	v_add_f64 v[22:23], v[174:175], -v[208:209]
	v_fma_f64 v[20:21], v[14:15], s[6:7], v[20:21]
	v_fma_f64 v[12:13], v[14:15], s[20:21], v[12:13]
	v_add_f64 v[14:15], v[170:171], -v[210:211]
	v_fma_f64 v[180:181], v[24:25], s[16:17], v[20:21]
	v_fma_f64 v[176:177], v[24:25], s[16:17], v[12:13]
	v_add_f64 v[12:13], v[138:139], v[178:179]
	v_add_f64 v[24:25], v[178:179], -v[182:183]
	v_add_f64 v[12:13], v[12:13], v[182:183]
	v_add_f64 v[24:25], v[24:25], v[26:27]
	v_add_f64 v[26:27], v[204:205], -v[206:207]
	v_add_f64 v[12:13], v[12:13], v[204:205]
	v_add_f64 v[166:167], v[12:13], v[206:207]
	v_add_f64 v[12:13], v[182:183], v[204:205]
	v_fma_f64 v[12:13], v[12:13], -0.5, v[138:139]
	v_fma_f64 v[20:21], v[14:15], s[18:19], v[12:13]
	v_fma_f64 v[12:13], v[14:15], s[4:5], v[12:13]
	v_fma_f64 v[20:21], v[22:23], s[20:21], v[20:21]
	v_fma_f64 v[12:13], v[22:23], s[6:7], v[12:13]
	v_fma_f64 v[174:175], v[24:25], s[16:17], v[20:21]
	v_fma_f64 v[170:171], v[24:25], s[16:17], v[12:13]
	v_add_f64 v[12:13], v[178:179], v[206:207]
	v_add_f64 v[24:25], v[182:183], -v[178:179]
	v_fma_f64 v[12:13], v[12:13], -0.5, v[138:139]
	v_add_f64 v[24:25], v[24:25], v[26:27]
	v_add_f64 v[26:27], v[202:203], -v[198:199]
	v_fma_f64 v[20:21], v[22:23], s[4:5], v[12:13]
	v_fma_f64 v[12:13], v[22:23], s[18:19], v[12:13]
	v_add_f64 v[22:23], v[190:191], -v[192:193]
	v_fma_f64 v[20:21], v[14:15], s[20:21], v[20:21]
	v_fma_f64 v[12:13], v[14:15], s[6:7], v[12:13]
	v_add_f64 v[14:15], v[188:189], -v[194:195]
	v_fma_f64 v[182:183], v[24:25], s[16:17], v[20:21]
	v_fma_f64 v[178:179], v[24:25], s[16:17], v[12:13]
	v_add_f64 v[12:13], v[132:133], v[200:201]
	v_add_f64 v[24:25], v[200:201], -v[196:197]
	v_add_f64 v[12:13], v[12:13], v[196:197]
	v_add_f64 v[24:25], v[24:25], v[26:27]
	v_add_f64 v[26:27], v[198:199], -v[202:203]
	;; [unrolled: 28-line block ×3, first 2 shown]
	v_add_f64 v[12:13], v[12:13], v[192:193]
	v_add_f64 v[42:43], v[12:13], v[194:195]
	;; [unrolled: 1-line block ×3, first 2 shown]
	v_fma_f64 v[12:13], v[12:13], -0.5, v[134:135]
	v_fma_f64 v[20:21], v[14:15], s[18:19], v[12:13]
	v_fma_f64 v[12:13], v[14:15], s[4:5], v[12:13]
	;; [unrolled: 1-line block ×6, first 2 shown]
	v_add_f64 v[12:13], v[188:189], v[194:195]
	v_add_f64 v[24:25], v[190:191], -v[188:189]
	v_fma_f64 v[12:13], v[12:13], -0.5, v[134:135]
	v_add_f64 v[24:25], v[24:25], v[26:27]
	v_fma_f64 v[20:21], v[22:23], s[4:5], v[12:13]
	v_fma_f64 v[12:13], v[22:23], s[18:19], v[12:13]
	v_add_f64 v[22:23], v[184:185], -v[8:9]
	v_fma_f64 v[20:21], v[14:15], s[20:21], v[20:21]
	v_fma_f64 v[12:13], v[14:15], s[6:7], v[12:13]
	v_add_f64 v[14:15], v[186:187], -v[10:11]
	v_fma_f64 v[54:55], v[24:25], s[16:17], v[20:21]
	v_fma_f64 v[58:59], v[24:25], s[16:17], v[12:13]
	v_add_f64 v[12:13], v[16:17], v[4:5]
	v_add_f64 v[20:21], v[18:19], -v[16:17]
	v_add_f64 v[24:25], v[6:7], -v[4:5]
	v_fma_f64 v[12:13], v[12:13], -0.5, v[144:145]
	v_add_f64 v[20:21], v[20:21], v[24:25]
	v_fma_f64 v[24:25], v[14:15], s[18:19], v[12:13]
	v_fma_f64 v[24:25], v[22:23], s[20:21], v[24:25]
	;; [unrolled: 1-line block ×3, first 2 shown]
	v_add_f64 v[24:25], v[18:19], v[6:7]
	v_fma_f64 v[24:25], v[24:25], -0.5, v[144:145]
	v_fma_f64 v[26:27], v[22:23], s[18:19], v[24:25]
	v_fma_f64 v[24:25], v[22:23], s[4:5], v[24:25]
	;; [unrolled: 1-line block ×6, first 2 shown]
	v_add_f64 v[24:25], v[184:185], v[8:9]
	v_add_f64 v[26:27], v[186:187], -v[184:185]
	v_add_f64 v[28:29], v[16:17], -v[4:5]
	v_fma_f64 v[24:25], v[24:25], -0.5, v[146:147]
	v_add_f64 v[26:27], v[26:27], v[60:61]
	v_fma_f64 v[60:61], v[30:31], s[4:5], v[24:25]
	v_fma_f64 v[60:61], v[28:29], s[6:7], v[60:61]
	;; [unrolled: 1-line block ×3, first 2 shown]
	v_add_f64 v[60:61], v[186:187], v[10:11]
	buffer_store_dword v62, off, s[60:63], 0 offset:4 ; 4-byte Folded Spill
	s_nop 0
	buffer_store_dword v63, off, s[60:63], 0 offset:8 ; 4-byte Folded Spill
	buffer_store_dword v64, off, s[60:63], 0 offset:12 ; 4-byte Folded Spill
	;; [unrolled: 1-line block ×3, first 2 shown]
	v_fma_f64 v[60:61], v[60:61], -0.5, v[146:147]
	v_add_f64 v[64:65], v[184:185], -v[186:187]
	v_fma_f64 v[62:63], v[28:29], s[4:5], v[60:61]
	v_fma_f64 v[60:61], v[28:29], s[18:19], v[60:61]
	v_add_f64 v[64:65], v[64:65], v[66:67]
	v_fma_f64 v[62:63], v[30:31], s[20:21], v[62:63]
	v_fma_f64 v[60:61], v[30:31], s[6:7], v[60:61]
	;; [unrolled: 1-line block ×4, first 2 shown]
	buffer_store_dword v68, off, s[60:63], 0 offset:20 ; 4-byte Folded Spill
	s_nop 0
	buffer_store_dword v69, off, s[60:63], 0 offset:24 ; 4-byte Folded Spill
	buffer_store_dword v70, off, s[60:63], 0 offset:28 ; 4-byte Folded Spill
	;; [unrolled: 1-line block ×4, first 2 shown]
	s_nop 0
	buffer_store_dword v73, off, s[60:63], 0 offset:40 ; 4-byte Folded Spill
	buffer_store_dword v74, off, s[60:63], 0 offset:44 ; 4-byte Folded Spill
	;; [unrolled: 1-line block ×3, first 2 shown]
	s_waitcnt vmcnt(0)
	s_barrier
	ds_write_b128 v32, v[148:151]
	ds_write_b128 v32, v[152:155] offset:272
	ds_write_b128 v32, v[160:163] offset:544
	;; [unrolled: 1-line block ×3, first 2 shown]
	v_mul_u32_u24_e32 v0, 0x55, v34
	v_add_lshl_u32 v0, v0, v35, 4
	buffer_store_dword v32, off, s[60:63], 0 offset:340 ; 4-byte Folded Spill
	ds_write_b128 v32, v[156:159] offset:1088
	ds_write_b128 v0, v[164:167]
	ds_write_b128 v0, v[172:175] offset:272
	ds_write_b128 v0, v[180:183] offset:544
	;; [unrolled: 1-line block ×3, first 2 shown]
	buffer_store_dword v0, off, s[60:63], 0 offset:344 ; 4-byte Folded Spill
	ds_write_b128 v0, v[168:171] offset:1088
	v_mul_u32_u24_e32 v0, 0x55, v36
	v_add_lshl_u32 v0, v0, v37, 4
	ds_write_b128 v0, v[40:43]
	ds_write_b128 v0, v[44:47] offset:272
	ds_write_b128 v0, v[52:55] offset:544
	ds_write_b128 v0, v[56:59] offset:816
	buffer_store_dword v0, off, s[60:63], 0 offset:348 ; 4-byte Folded Spill
	ds_write_b128 v0, v[48:51] offset:1088
	s_and_saveexec_b64 s[18:19], vcc
	s_cbranch_execz .LBB0_5
; %bb.4:
	v_add_f64 v[18:19], v[144:145], v[18:19]
	v_mul_f64 v[0:1], v[30:31], s[4:5]
	v_add_f64 v[2:3], v[146:147], v[186:187]
	v_mul_f64 v[14:15], v[14:15], s[4:5]
	v_mul_f64 v[22:23], v[22:23], s[6:7]
	;; [unrolled: 1-line block ×3, first 2 shown]
	s_movk_i32 s4, 0x55
	v_add_f64 v[16:17], v[18:19], v[16:17]
	v_add_f64 v[0:1], v[24:25], -v[0:1]
	v_add_f64 v[2:3], v[2:3], v[184:185]
	v_add_f64 v[12:13], v[12:13], v[14:15]
	v_mul_f64 v[14:15], v[20:21], s[16:17]
	v_mul_f64 v[18:19], v[26:27], s[16:17]
	v_add_f64 v[4:5], v[16:17], v[4:5]
	v_add_f64 v[0:1], v[0:1], -v[28:29]
	v_add_f64 v[8:9], v[2:3], v[8:9]
	v_add_f64 v[12:13], v[22:23], v[12:13]
	;; [unrolled: 1-line block ×3, first 2 shown]
	buffer_load_dword v4, off, s[60:63], 0 offset:332 ; 4-byte Folded Reload
	buffer_load_dword v5, off, s[60:63], 0 offset:336 ; 4-byte Folded Reload
	v_add_f64 v[2:3], v[18:19], v[0:1]
	v_add_f64 v[8:9], v[8:9], v[10:11]
	;; [unrolled: 1-line block ×3, first 2 shown]
	buffer_load_dword v10, off, s[60:63], 0 offset:20 ; 4-byte Folded Reload
	buffer_load_dword v11, off, s[60:63], 0 offset:24 ; 4-byte Folded Reload
	;; [unrolled: 1-line block ×4, first 2 shown]
	s_waitcnt vmcnt(4)
	v_mad_legacy_u16 v4, v4, s4, v5
	v_lshlrev_b32_e32 v4, 4, v4
	s_waitcnt vmcnt(0)
	ds_write_b128 v4, v[10:13] offset:544
	buffer_load_dword v10, off, s[60:63], 0 offset:36 ; 4-byte Folded Reload
	buffer_load_dword v11, off, s[60:63], 0 offset:40 ; 4-byte Folded Reload
	;; [unrolled: 1-line block ×4, first 2 shown]
	s_waitcnt vmcnt(0)
	ds_write_b128 v4, v[10:13] offset:816
	ds_write_b128 v4, v[6:9]
	ds_write_b128 v4, v[0:3] offset:272
	buffer_load_dword v0, off, s[60:63], 0 offset:4 ; 4-byte Folded Reload
	buffer_load_dword v1, off, s[60:63], 0 offset:8 ; 4-byte Folded Reload
	buffer_load_dword v2, off, s[60:63], 0 offset:12 ; 4-byte Folded Reload
	buffer_load_dword v3, off, s[60:63], 0 offset:16 ; 4-byte Folded Reload
	s_waitcnt vmcnt(0)
	ds_write_b128 v4, v[0:3] offset:1088
.LBB0_5:
	s_or_b64 exec, exec, s[18:19]
	v_mov_b32_e32 v0, s13
	v_addc_co_u32_e64 v217, s[0:1], 0, v0, s[0:1]
	s_waitcnt vmcnt(0) lgkmcnt(0)
	s_barrier
	ds_read_b128 v[212:215], v38
	ds_read_b128 v[0:3], v38 offset:1360
	ds_read_b128 v[4:7], v38 offset:2720
	;; [unrolled: 1-line block ×16, first 2 shown]
	buffer_load_dword v36, off, s[60:63], 0 ; 4-byte Folded Reload
	s_mov_b32 s24, 0x5d8e7cdc
	s_mov_b32 s25, 0xbfd71e95
	;; [unrolled: 1-line block ×43, first 2 shown]
	s_movk_i32 s0, 0x5a50
	s_waitcnt vmcnt(0)
	v_lshlrev_b32_e32 v68, 8, v36
	global_load_dwordx4 v[144:147], v68, s[14:15] offset:1136
	global_load_dwordx4 v[152:155], v68, s[14:15] offset:1120
	;; [unrolled: 1-line block ×16, first 2 shown]
	s_mov_b32 s14, 0x7c9e640b
	s_mov_b32 s15, 0xbfeca52d
	;; [unrolled: 1-line block ×3, first 2 shown]
	s_waitcnt vmcnt(12) lgkmcnt(14)
	v_mul_f64 v[36:37], v[2:3], v[182:183]
	v_fma_f64 v[36:37], v[0:1], v[180:181], -v[36:37]
	v_mul_f64 v[0:1], v[0:1], v[182:183]
	v_fma_f64 v[132:133], v[2:3], v[180:181], v[0:1]
	v_mul_f64 v[0:1], v[6:7], v[178:179]
	v_fma_f64 v[246:247], v[4:5], v[176:177], -v[0:1]
	v_mul_f64 v[0:1], v[4:5], v[178:179]
	s_waitcnt vmcnt(4) lgkmcnt(7)
	v_mul_f64 v[4:5], v[34:35], v[202:203]
	v_fma_f64 v[244:245], v[6:7], v[176:177], v[0:1]
	v_mul_f64 v[0:1], v[10:11], v[154:155]
	v_fma_f64 v[6:7], v[32:33], v[200:201], -v[4:5]
	v_mul_f64 v[4:5], v[32:33], v[202:203]
	v_fma_f64 v[238:239], v[8:9], v[152:153], -v[0:1]
	v_mul_f64 v[0:1], v[8:9], v[154:155]
	v_fma_f64 v[4:5], v[34:35], v[200:201], v[4:5]
	v_fma_f64 v[236:237], v[10:11], v[152:153], v[0:1]
	v_mul_f64 v[0:1], v[14:15], v[146:147]
	v_fma_f64 v[230:231], v[12:13], v[144:145], -v[0:1]
	v_mul_f64 v[0:1], v[12:13], v[146:147]
	s_waitcnt lgkmcnt(6)
	v_mul_f64 v[12:13], v[42:43], v[174:175]
	v_fma_f64 v[228:229], v[14:15], v[144:145], v[0:1]
	v_mul_f64 v[0:1], v[18:19], v[194:195]
	v_fma_f64 v[14:15], v[40:41], v[172:173], -v[12:13]
	v_mul_f64 v[12:13], v[40:41], v[174:175]
	v_fma_f64 v[222:223], v[16:17], v[192:193], -v[0:1]
	v_mul_f64 v[0:1], v[16:17], v[194:195]
	v_fma_f64 v[12:13], v[42:43], v[172:173], v[12:13]
	v_fma_f64 v[220:221], v[18:19], v[192:193], v[0:1]
	v_mul_f64 v[0:1], v[22:23], v[162:163]
	v_fma_f64 v[18:19], v[20:21], v[160:161], -v[0:1]
	v_mul_f64 v[0:1], v[20:21], v[162:163]
	s_waitcnt lgkmcnt(5)
	v_mul_f64 v[20:21], v[46:47], v[170:171]
	v_fma_f64 v[16:17], v[22:23], v[160:161], v[0:1]
	v_mul_f64 v[0:1], v[26:27], v[158:159]
	v_fma_f64 v[218:219], v[44:45], v[168:169], -v[20:21]
	v_mul_f64 v[20:21], v[44:45], v[170:171]
	s_waitcnt vmcnt(3) lgkmcnt(0)
	v_mul_f64 v[22:23], v[64:65], v[198:199]
	v_fma_f64 v[10:11], v[24:25], v[156:157], -v[0:1]
	v_mul_f64 v[0:1], v[24:25], v[158:159]
	v_add_f64 v[24:25], v[212:213], v[36:37]
	v_fma_f64 v[138:139], v[46:47], v[168:169], v[20:21]
	v_mul_f64 v[20:21], v[50:51], v[166:167]
	v_fma_f64 v[22:23], v[66:67], v[196:197], v[22:23]
	v_fma_f64 v[8:9], v[26:27], v[156:157], v[0:1]
	v_add_f64 v[26:27], v[214:215], v[132:133]
	v_add_f64 v[24:25], v[24:25], v[246:247]
	v_mul_f64 v[0:1], v[30:31], v[150:151]
	v_fma_f64 v[226:227], v[48:49], v[164:165], -v[20:21]
	v_mul_f64 v[20:21], v[48:49], v[166:167]
	v_add_f64 v[252:253], v[132:133], v[22:23]
	v_add_f64 v[26:27], v[26:27], v[244:245]
	;; [unrolled: 1-line block ×3, first 2 shown]
	v_fma_f64 v[74:75], v[28:29], v[148:149], -v[0:1]
	v_mul_f64 v[0:1], v[28:29], v[150:151]
	v_fma_f64 v[224:225], v[50:51], v[164:165], v[20:21]
	s_waitcnt vmcnt(0)
	v_mul_f64 v[20:21], v[54:55], v[206:207]
	v_add_f64 v[26:27], v[26:27], v[236:237]
	v_add_f64 v[24:25], v[24:25], v[230:231]
	v_fma_f64 v[72:73], v[30:31], v[148:149], v[0:1]
	v_fma_f64 v[234:235], v[52:53], v[204:205], -v[20:21]
	v_mul_f64 v[20:21], v[52:53], v[206:207]
	v_add_f64 v[26:27], v[26:27], v[228:229]
	v_add_f64 v[24:25], v[24:25], v[222:223]
	v_fma_f64 v[232:233], v[54:55], v[204:205], v[20:21]
	v_mul_f64 v[20:21], v[58:59], v[190:191]
	v_add_f64 v[26:27], v[26:27], v[220:221]
	v_add_f64 v[24:25], v[24:25], v[18:19]
	v_fma_f64 v[242:243], v[56:57], v[188:189], -v[20:21]
	v_add_f64 v[26:27], v[26:27], v[16:17]
	v_add_f64 v[24:25], v[24:25], v[10:11]
	v_mul_f64 v[20:21], v[56:57], v[190:191]
	v_add_f64 v[26:27], v[26:27], v[8:9]
	v_add_f64 v[24:25], v[24:25], v[74:75]
	v_fma_f64 v[240:241], v[58:59], v[188:189], v[20:21]
	v_mul_f64 v[20:21], v[62:63], v[186:187]
	v_add_f64 v[26:27], v[26:27], v[72:73]
	v_add_f64 v[24:25], v[24:25], v[6:7]
	v_fma_f64 v[250:251], v[60:61], v[184:185], -v[20:21]
	v_mul_f64 v[20:21], v[60:61], v[186:187]
	v_add_f64 v[26:27], v[26:27], v[4:5]
	v_add_f64 v[24:25], v[24:25], v[14:15]
	v_fma_f64 v[248:249], v[62:63], v[184:185], v[20:21]
	v_mul_f64 v[20:21], v[66:67], v[198:199]
	v_add_f64 v[26:27], v[26:27], v[12:13]
	v_add_f64 v[24:25], v[24:25], v[218:219]
	v_fma_f64 v[20:21], v[64:65], v[196:197], -v[20:21]
	v_add_f64 v[26:27], v[26:27], v[138:139]
	v_add_f64 v[24:25], v[24:25], v[226:227]
	;; [unrolled: 1-line block ×11, first 2 shown]
	v_add_f64 v[20:21], v[36:37], -v[20:21]
	v_add_f64 v[70:71], v[26:27], v[22:23]
	v_add_f64 v[22:23], v[132:133], -v[22:23]
	v_mul_f64 v[46:47], v[20:21], s[28:29]
	v_mul_f64 v[0:1], v[20:21], s[34:35]
	;; [unrolled: 1-line block ×6, first 2 shown]
	v_fma_f64 v[210:211], v[252:253], s[36:37], v[0:1]
	v_fma_f64 v[0:1], v[252:253], s[36:37], -v[0:1]
	v_fma_f64 v[26:27], v[254:255], s[26:27], -v[24:25]
	v_fma_f64 v[24:25], v[254:255], s[26:27], v[24:25]
	v_fma_f64 v[32:33], v[254:255], s[6:7], -v[30:31]
	v_fma_f64 v[30:31], v[254:255], s[6:7], v[30:31]
	;; [unrolled: 2-line block ×3, first 2 shown]
	v_fma_f64 v[142:143], v[254:255], s[36:37], -v[140:141]
	v_add_f64 v[210:211], v[214:215], v[210:211]
	v_add_f64 v[66:67], v[212:213], v[26:27]
	v_mul_f64 v[26:27], v[20:21], s[24:25]
	v_add_f64 v[136:137], v[212:213], v[24:25]
	v_add_f64 v[64:65], v[212:213], v[32:33]
	v_mul_f64 v[32:33], v[20:21], s[4:5]
	v_add_f64 v[56:57], v[212:213], v[30:31]
	v_add_f64 v[60:61], v[212:213], v[42:43]
	v_fma_f64 v[42:43], v[252:253], s[30:31], v[46:47]
	v_fma_f64 v[46:47], v[252:253], s[30:31], -v[46:47]
	v_fma_f64 v[24:25], v[252:253], s[26:27], -v[26:27]
	v_fma_f64 v[28:29], v[252:253], s[26:27], v[26:27]
	v_fma_f64 v[140:141], v[254:255], s[36:37], v[140:141]
	;; [unrolled: 1-line block ×3, first 2 shown]
	v_fma_f64 v[30:31], v[252:253], s[6:7], -v[32:33]
	v_mul_f64 v[32:33], v[22:23], s[16:17]
	v_add_f64 v[42:43], v[214:215], v[42:43]
	v_add_f64 v[46:47], v[214:215], v[46:47]
	;; [unrolled: 1-line block ×3, first 2 shown]
	v_mul_f64 v[24:25], v[22:23], s[20:21]
	v_add_f64 v[36:37], v[214:215], v[28:29]
	v_add_f64 v[54:55], v[214:215], v[34:35]
	;; [unrolled: 1-line block ×3, first 2 shown]
	v_fma_f64 v[30:31], v[254:255], s[18:19], -v[32:33]
	v_mul_f64 v[34:35], v[20:21], s[16:17]
	v_fma_f64 v[32:33], v[254:255], s[18:19], v[32:33]
	v_add_f64 v[0:1], v[214:215], v[0:1]
	v_fma_f64 v[26:27], v[254:255], s[22:23], -v[24:25]
	v_fma_f64 v[24:25], v[254:255], s[22:23], v[24:25]
	v_add_f64 v[44:45], v[212:213], v[44:45]
	v_add_f64 v[142:143], v[212:213], v[142:143]
	;; [unrolled: 1-line block ×3, first 2 shown]
	v_fma_f64 v[30:31], v[252:253], s[18:19], v[34:35]
	v_fma_f64 v[34:35], v[252:253], s[18:19], -v[34:35]
	v_add_f64 v[32:33], v[212:213], v[32:33]
	v_add_f64 v[62:63], v[212:213], v[26:27]
	v_mul_f64 v[26:27], v[20:21], s[20:21]
	v_add_f64 v[50:51], v[212:213], v[24:25]
	v_add_f64 v[140:141], v[212:213], v[140:141]
	;; [unrolled: 1-line block ×4, first 2 shown]
	v_fma_f64 v[28:29], v[252:253], s[22:23], v[26:27]
	v_fma_f64 v[24:25], v[252:253], s[22:23], -v[26:27]
	v_mul_f64 v[26:27], v[22:23], s[14:15]
	v_mul_f64 v[22:23], v[22:23], s[38:39]
	v_add_f64 v[48:49], v[214:215], v[28:29]
	v_add_f64 v[52:53], v[214:215], v[24:25]
	v_fma_f64 v[24:25], v[254:255], s[12:13], -v[26:27]
	v_mul_f64 v[28:29], v[20:21], s[14:15]
	v_mul_f64 v[20:21], v[20:21], s[38:39]
	v_fma_f64 v[26:27], v[254:255], s[12:13], v[26:27]
	v_fma_f64 v[208:209], v[254:255], s[40:41], -v[22:23]
	v_fma_f64 v[22:23], v[254:255], s[40:41], v[22:23]
	v_add_f64 v[132:133], v[212:213], v[24:25]
	v_fma_f64 v[24:25], v[252:253], s[12:13], v[28:29]
	v_fma_f64 v[28:29], v[252:253], s[12:13], -v[28:29]
	v_fma_f64 v[2:3], v[252:253], s[40:41], v[20:21]
	v_fma_f64 v[20:21], v[252:253], s[40:41], -v[20:21]
	v_add_f64 v[26:27], v[212:213], v[26:27]
	v_add_f64 v[208:209], v[212:213], v[208:209]
	;; [unrolled: 1-line block ×9, first 2 shown]
	v_add_f64 v[244:245], v[244:245], -v[248:249]
	v_add_f64 v[246:247], v[246:247], -v[250:251]
	v_mul_f64 v[248:249], v[244:245], s[20:21]
	v_fma_f64 v[250:251], v[212:213], s[22:23], -v[248:249]
	v_fma_f64 v[248:249], v[212:213], s[22:23], v[248:249]
	v_add_f64 v[66:67], v[250:251], v[66:67]
	v_mul_f64 v[250:251], v[246:247], s[20:21]
	v_add_f64 v[136:137], v[248:249], v[136:137]
	v_fma_f64 v[248:249], v[214:215], s[22:23], -v[250:251]
	v_fma_f64 v[252:253], v[214:215], s[22:23], v[250:251]
	v_add_f64 v[40:41], v[248:249], v[40:41]
	v_mul_f64 v[248:249], v[244:245], s[4:5]
	v_add_f64 v[36:37], v[252:253], v[36:37]
	;; [unrolled: 5-line block ×11, first 2 shown]
	v_fma_f64 v[248:249], v[214:215], s[18:19], -v[250:251]
	v_fma_f64 v[252:253], v[214:215], s[18:19], v[250:251]
	v_add_f64 v[46:47], v[248:249], v[46:47]
	v_mul_f64 v[248:249], v[244:245], s[44:45]
	v_mul_f64 v[244:245], v[244:245], s[48:49]
	v_add_f64 v[42:43], v[252:253], v[42:43]
	v_fma_f64 v[250:251], v[212:213], s[12:13], -v[248:249]
	v_fma_f64 v[248:249], v[212:213], s[12:13], v[248:249]
	v_add_f64 v[142:143], v[250:251], v[142:143]
	v_mul_f64 v[250:251], v[246:247], s[44:45]
	v_add_f64 v[140:141], v[248:249], v[140:141]
	v_mul_f64 v[246:247], v[246:247], s[48:49]
	v_fma_f64 v[248:249], v[214:215], s[12:13], -v[250:251]
	v_fma_f64 v[252:253], v[214:215], s[12:13], v[250:251]
	v_add_f64 v[0:1], v[248:249], v[0:1]
	v_fma_f64 v[248:249], v[212:213], s[26:27], -v[244:245]
	v_fma_f64 v[212:213], v[212:213], s[26:27], v[244:245]
	v_add_f64 v[210:211], v[252:253], v[210:211]
	v_add_f64 v[208:209], v[248:249], v[208:209]
	v_fma_f64 v[248:249], v[214:215], s[26:27], v[246:247]
	v_add_f64 v[22:23], v[212:213], v[22:23]
	v_fma_f64 v[212:213], v[214:215], s[26:27], -v[246:247]
	v_add_f64 v[214:215], v[236:237], v[240:241]
	v_add_f64 v[236:237], v[236:237], -v[240:241]
	v_add_f64 v[2:3], v[248:249], v[2:3]
	v_add_f64 v[20:21], v[212:213], v[20:21]
	v_add_f64 v[212:213], v[238:239], v[242:243]
	v_mul_f64 v[240:241], v[236:237], s[14:15]
	v_add_f64 v[238:239], v[238:239], -v[242:243]
	v_fma_f64 v[242:243], v[212:213], s[12:13], -v[240:241]
	v_fma_f64 v[240:241], v[212:213], s[12:13], v[240:241]
	v_add_f64 v[66:67], v[242:243], v[66:67]
	v_mul_f64 v[242:243], v[238:239], s[14:15]
	v_add_f64 v[136:137], v[240:241], v[136:137]
	v_fma_f64 v[240:241], v[214:215], s[12:13], -v[242:243]
	v_fma_f64 v[244:245], v[214:215], s[12:13], v[242:243]
	v_add_f64 v[40:41], v[240:241], v[40:41]
	v_mul_f64 v[240:241], v[236:237], s[28:29]
	v_add_f64 v[36:37], v[244:245], v[36:37]
	;; [unrolled: 5-line block ×11, first 2 shown]
	v_fma_f64 v[240:241], v[214:215], s[26:27], -v[242:243]
	v_fma_f64 v[244:245], v[214:215], s[26:27], v[242:243]
	v_add_f64 v[46:47], v[240:241], v[46:47]
	v_mul_f64 v[240:241], v[236:237], s[4:5]
	v_mul_f64 v[236:237], v[236:237], s[34:35]
	v_add_f64 v[42:43], v[244:245], v[42:43]
	v_fma_f64 v[242:243], v[212:213], s[6:7], -v[240:241]
	v_fma_f64 v[240:241], v[212:213], s[6:7], v[240:241]
	v_add_f64 v[142:143], v[242:243], v[142:143]
	v_mul_f64 v[242:243], v[238:239], s[4:5]
	v_add_f64 v[140:141], v[240:241], v[140:141]
	v_mul_f64 v[238:239], v[238:239], s[34:35]
	v_fma_f64 v[240:241], v[214:215], s[6:7], -v[242:243]
	v_fma_f64 v[244:245], v[214:215], s[6:7], v[242:243]
	v_add_f64 v[0:1], v[240:241], v[0:1]
	v_fma_f64 v[240:241], v[212:213], s[36:37], -v[236:237]
	v_fma_f64 v[212:213], v[212:213], s[36:37], v[236:237]
	v_add_f64 v[210:211], v[244:245], v[210:211]
	v_add_f64 v[208:209], v[240:241], v[208:209]
	v_fma_f64 v[240:241], v[214:215], s[36:37], v[238:239]
	v_add_f64 v[22:23], v[212:213], v[22:23]
	v_fma_f64 v[212:213], v[214:215], s[36:37], -v[238:239]
	v_add_f64 v[214:215], v[228:229], v[232:233]
	v_add_f64 v[228:229], v[228:229], -v[232:233]
	v_add_f64 v[2:3], v[240:241], v[2:3]
	v_add_f64 v[20:21], v[212:213], v[20:21]
	;; [unrolled: 1-line block ×3, first 2 shown]
	v_mul_f64 v[232:233], v[228:229], s[4:5]
	v_add_f64 v[230:231], v[230:231], -v[234:235]
	v_fma_f64 v[234:235], v[212:213], s[6:7], -v[232:233]
	v_fma_f64 v[232:233], v[212:213], s[6:7], v[232:233]
	v_add_f64 v[66:67], v[234:235], v[66:67]
	v_mul_f64 v[234:235], v[230:231], s[4:5]
	v_add_f64 v[136:137], v[232:233], v[136:137]
	v_fma_f64 v[232:233], v[214:215], s[6:7], -v[234:235]
	v_fma_f64 v[236:237], v[214:215], s[6:7], v[234:235]
	v_add_f64 v[40:41], v[232:233], v[40:41]
	v_mul_f64 v[232:233], v[228:229], s[38:39]
	v_add_f64 v[36:37], v[236:237], v[36:37]
	;; [unrolled: 5-line block ×11, first 2 shown]
	v_fma_f64 v[232:233], v[214:215], s[36:37], -v[234:235]
	v_fma_f64 v[236:237], v[214:215], s[36:37], v[234:235]
	v_add_f64 v[46:47], v[232:233], v[46:47]
	v_mul_f64 v[232:233], v[228:229], s[54:55]
	v_mul_f64 v[228:229], v[228:229], s[50:51]
	v_add_f64 v[42:43], v[236:237], v[42:43]
	v_fma_f64 v[234:235], v[212:213], s[30:31], -v[232:233]
	v_fma_f64 v[232:233], v[212:213], s[30:31], v[232:233]
	v_add_f64 v[142:143], v[234:235], v[142:143]
	v_mul_f64 v[234:235], v[230:231], s[54:55]
	v_add_f64 v[140:141], v[232:233], v[140:141]
	v_mul_f64 v[230:231], v[230:231], s[50:51]
	v_fma_f64 v[232:233], v[214:215], s[30:31], -v[234:235]
	v_fma_f64 v[236:237], v[214:215], s[30:31], v[234:235]
	v_add_f64 v[234:235], v[72:73], -v[4:5]
	v_add_f64 v[0:1], v[232:233], v[0:1]
	v_fma_f64 v[232:233], v[212:213], s[22:23], -v[228:229]
	v_fma_f64 v[212:213], v[212:213], s[22:23], v[228:229]
	v_add_f64 v[210:211], v[236:237], v[210:211]
	v_add_f64 v[208:209], v[232:233], v[208:209]
	v_fma_f64 v[232:233], v[214:215], s[22:23], v[230:231]
	v_add_f64 v[22:23], v[212:213], v[22:23]
	v_fma_f64 v[212:213], v[214:215], s[22:23], -v[230:231]
	v_add_f64 v[214:215], v[220:221], v[224:225]
	v_add_f64 v[220:221], v[220:221], -v[224:225]
	v_add_f64 v[230:231], v[72:73], v[4:5]
	v_mul_f64 v[4:5], v[234:235], s[38:39]
	v_add_f64 v[2:3], v[232:233], v[2:3]
	v_add_f64 v[232:233], v[74:75], -v[6:7]
	v_add_f64 v[20:21], v[212:213], v[20:21]
	v_add_f64 v[212:213], v[222:223], v[226:227]
	v_mul_f64 v[224:225], v[220:221], s[16:17]
	v_add_f64 v[222:223], v[222:223], -v[226:227]
	v_fma_f64 v[226:227], v[212:213], s[18:19], -v[224:225]
	v_fma_f64 v[224:225], v[212:213], s[18:19], v[224:225]
	v_add_f64 v[66:67], v[226:227], v[66:67]
	v_mul_f64 v[226:227], v[222:223], s[16:17]
	v_add_f64 v[136:137], v[224:225], v[136:137]
	v_fma_f64 v[224:225], v[214:215], s[18:19], -v[226:227]
	v_fma_f64 v[228:229], v[214:215], s[18:19], v[226:227]
	v_add_f64 v[40:41], v[224:225], v[40:41]
	v_mul_f64 v[224:225], v[220:221], s[46:47]
	v_add_f64 v[36:37], v[228:229], v[36:37]
	;; [unrolled: 5-line block ×11, first 2 shown]
	v_fma_f64 v[224:225], v[214:215], s[6:7], -v[226:227]
	v_fma_f64 v[228:229], v[214:215], s[6:7], v[226:227]
	v_add_f64 v[46:47], v[224:225], v[46:47]
	v_mul_f64 v[224:225], v[220:221], s[24:25]
	v_mul_f64 v[220:221], v[220:221], s[28:29]
	v_add_f64 v[42:43], v[228:229], v[42:43]
	v_fma_f64 v[226:227], v[212:213], s[26:27], -v[224:225]
	v_fma_f64 v[224:225], v[212:213], s[26:27], v[224:225]
	v_add_f64 v[142:143], v[226:227], v[142:143]
	v_mul_f64 v[226:227], v[222:223], s[24:25]
	v_add_f64 v[140:141], v[224:225], v[140:141]
	v_mul_f64 v[222:223], v[222:223], s[28:29]
	v_fma_f64 v[224:225], v[214:215], s[26:27], -v[226:227]
	v_fma_f64 v[228:229], v[214:215], s[26:27], v[226:227]
	v_add_f64 v[0:1], v[224:225], v[0:1]
	v_fma_f64 v[224:225], v[212:213], s[30:31], -v[220:221]
	v_fma_f64 v[212:213], v[212:213], s[30:31], v[220:221]
	v_add_f64 v[210:211], v[228:229], v[210:211]
	v_add_f64 v[228:229], v[74:75], v[6:7]
	v_mul_f64 v[6:7], v[232:233], s[38:39]
	v_add_f64 v[208:209], v[224:225], v[208:209]
	v_fma_f64 v[224:225], v[214:215], s[30:31], v[222:223]
	v_add_f64 v[22:23], v[212:213], v[22:23]
	v_fma_f64 v[212:213], v[214:215], s[30:31], -v[222:223]
	v_add_f64 v[214:215], v[16:17], v[138:139]
	v_add_f64 v[16:17], v[16:17], -v[138:139]
	v_add_f64 v[2:3], v[224:225], v[2:3]
	v_add_f64 v[20:21], v[212:213], v[20:21]
	;; [unrolled: 1-line block ×3, first 2 shown]
	v_mul_f64 v[138:139], v[16:17], s[28:29]
	v_add_f64 v[18:19], v[18:19], -v[218:219]
	v_fma_f64 v[218:219], v[212:213], s[30:31], -v[138:139]
	v_fma_f64 v[138:139], v[212:213], s[30:31], v[138:139]
	v_add_f64 v[66:67], v[218:219], v[66:67]
	v_mul_f64 v[218:219], v[18:19], s[28:29]
	v_add_f64 v[136:137], v[138:139], v[136:137]
	v_fma_f64 v[138:139], v[214:215], s[30:31], -v[218:219]
	v_fma_f64 v[220:221], v[214:215], s[30:31], v[218:219]
	v_add_f64 v[40:41], v[138:139], v[40:41]
	v_mul_f64 v[138:139], v[16:17], s[42:43]
	v_add_f64 v[36:37], v[220:221], v[36:37]
	;; [unrolled: 5-line block ×11, first 2 shown]
	v_fma_f64 v[138:139], v[214:215], s[22:23], -v[218:219]
	v_fma_f64 v[220:221], v[214:215], s[22:23], v[218:219]
	v_add_f64 v[46:47], v[138:139], v[46:47]
	v_mul_f64 v[138:139], v[16:17], s[38:39]
	v_mul_f64 v[16:17], v[16:17], s[44:45]
	v_add_f64 v[42:43], v[220:221], v[42:43]
	v_fma_f64 v[218:219], v[212:213], s[40:41], -v[138:139]
	v_fma_f64 v[138:139], v[212:213], s[40:41], v[138:139]
	v_add_f64 v[142:143], v[218:219], v[142:143]
	v_mul_f64 v[218:219], v[18:19], s[38:39]
	v_add_f64 v[138:139], v[138:139], v[140:141]
	v_mul_f64 v[18:19], v[18:19], s[44:45]
	v_fma_f64 v[140:141], v[214:215], s[40:41], -v[218:219]
	v_fma_f64 v[220:221], v[214:215], s[40:41], v[218:219]
	v_add_f64 v[0:1], v[140:141], v[0:1]
	v_fma_f64 v[140:141], v[212:213], s[12:13], -v[16:17]
	v_fma_f64 v[16:17], v[212:213], s[12:13], v[16:17]
	v_add_f64 v[210:211], v[220:221], v[210:211]
	v_add_f64 v[140:141], v[140:141], v[208:209]
	v_fma_f64 v[208:209], v[214:215], s[12:13], v[18:19]
	v_add_f64 v[16:17], v[16:17], v[22:23]
	v_fma_f64 v[18:19], v[214:215], s[12:13], -v[18:19]
	v_add_f64 v[22:23], v[8:9], v[12:13]
	v_add_f64 v[8:9], v[8:9], -v[12:13]
	v_add_f64 v[2:3], v[208:209], v[2:3]
	v_add_f64 v[18:19], v[18:19], v[20:21]
	;; [unrolled: 1-line block ×3, first 2 shown]
	v_mul_f64 v[12:13], v[8:9], s[34:35]
	v_add_f64 v[10:11], v[10:11], -v[14:15]
	v_fma_f64 v[14:15], v[20:21], s[36:37], -v[12:13]
	v_fma_f64 v[12:13], v[20:21], s[36:37], v[12:13]
	v_add_f64 v[14:15], v[14:15], v[66:67]
	v_mul_f64 v[66:67], v[10:11], s[34:35]
	v_add_f64 v[12:13], v[12:13], v[136:137]
	v_fma_f64 v[208:209], v[22:23], s[36:37], v[66:67]
	v_fma_f64 v[66:67], v[22:23], s[36:37], -v[66:67]
	v_add_f64 v[36:37], v[208:209], v[36:37]
	v_add_f64 v[40:41], v[66:67], v[40:41]
	v_mul_f64 v[66:67], v[8:9], s[44:45]
	v_fma_f64 v[136:137], v[20:21], s[12:13], -v[66:67]
	v_fma_f64 v[66:67], v[20:21], s[12:13], v[66:67]
	v_add_f64 v[62:63], v[136:137], v[62:63]
	v_mul_f64 v[136:137], v[10:11], s[44:45]
	v_add_f64 v[50:51], v[66:67], v[50:51]
	v_fma_f64 v[66:67], v[22:23], s[12:13], -v[136:137]
	v_fma_f64 v[208:209], v[22:23], s[12:13], v[136:137]
	v_add_f64 v[52:53], v[66:67], v[52:53]
	v_mul_f64 v[66:67], v[8:9], s[4:5]
	v_add_f64 v[48:49], v[208:209], v[48:49]
	;; [unrolled: 5-line block ×6, first 2 shown]
	v_fma_f64 v[136:137], v[20:21], s[26:27], -v[66:67]
	v_add_f64 v[134:135], v[136:137], v[134:135]
	v_mul_f64 v[136:137], v[10:11], s[24:25]
	v_fma_f64 v[208:209], v[22:23], s[26:27], v[136:137]
	v_add_f64 v[208:209], v[208:209], v[30:31]
	v_fma_f64 v[30:31], v[20:21], s[26:27], v[66:67]
	v_add_f64 v[66:67], v[30:31], v[32:33]
	v_fma_f64 v[30:31], v[22:23], s[26:27], -v[136:137]
	v_add_f64 v[136:137], v[30:31], v[34:35]
	v_mul_f64 v[30:31], v[8:9], s[38:39]
	v_fma_f64 v[32:33], v[20:21], s[40:41], -v[30:31]
	v_fma_f64 v[30:31], v[20:21], s[40:41], v[30:31]
	v_add_f64 v[60:61], v[32:33], v[60:61]
	v_mul_f64 v[32:33], v[10:11], s[38:39]
	v_add_f64 v[214:215], v[30:31], v[44:45]
	v_fma_f64 v[30:31], v[22:23], s[40:41], -v[32:33]
	v_fma_f64 v[34:35], v[22:23], s[40:41], v[32:33]
	v_add_f64 v[218:219], v[30:31], v[46:47]
	v_mul_f64 v[30:31], v[8:9], s[50:51]
	v_add_f64 v[212:213], v[34:35], v[42:43]
	v_mul_f64 v[42:43], v[232:233], s[28:29]
	v_fma_f64 v[32:33], v[20:21], s[22:23], -v[30:31]
	v_fma_f64 v[30:31], v[20:21], s[22:23], v[30:31]
	v_add_f64 v[142:143], v[32:33], v[142:143]
	v_mul_f64 v[32:33], v[10:11], s[50:51]
	v_add_f64 v[138:139], v[30:31], v[138:139]
	v_fma_f64 v[30:31], v[22:23], s[22:23], -v[32:33]
	v_fma_f64 v[34:35], v[22:23], s[22:23], v[32:33]
	v_add_f64 v[220:221], v[30:31], v[0:1]
	v_mul_f64 v[0:1], v[8:9], s[16:17]
	v_add_f64 v[210:211], v[34:35], v[210:211]
	v_fma_f64 v[34:35], v[230:231], s[30:31], v[42:43]
	v_mul_f64 v[30:31], v[232:233], s[50:51]
	v_fma_f64 v[8:9], v[20:21], s[18:19], -v[0:1]
	v_fma_f64 v[0:1], v[20:21], s[18:19], v[0:1]
	v_mul_f64 v[20:21], v[234:235], s[34:35]
	v_add_f64 v[34:35], v[34:35], v[208:209]
	v_add_f64 v[140:141], v[8:9], v[140:141]
	v_mul_f64 v[8:9], v[10:11], s[16:17]
	v_add_f64 v[224:225], v[0:1], v[16:17]
	v_fma_f64 v[16:17], v[228:229], s[36:37], -v[20:21]
	v_fma_f64 v[20:21], v[228:229], s[36:37], v[20:21]
	v_fma_f64 v[10:11], v[22:23], s[18:19], v[8:9]
	v_fma_f64 v[0:1], v[22:23], s[18:19], -v[8:9]
	v_mul_f64 v[22:23], v[232:233], s[34:35]
	v_add_f64 v[20:21], v[20:21], v[26:27]
	v_fma_f64 v[26:27], v[230:231], s[22:23], v[30:31]
	v_fma_f64 v[30:31], v[230:231], s[22:23], -v[30:31]
	v_add_f64 v[16:17], v[16:17], v[132:133]
	v_add_f64 v[222:223], v[10:11], v[2:3]
	v_fma_f64 v[2:3], v[230:231], s[40:41], v[6:7]
	v_add_f64 v[226:227], v[0:1], v[18:19]
	v_fma_f64 v[0:1], v[228:229], s[40:41], -v[4:5]
	v_fma_f64 v[4:5], v[228:229], s[40:41], v[4:5]
	v_fma_f64 v[6:7], v[230:231], s[40:41], -v[6:7]
	v_fma_f64 v[18:19], v[230:231], s[36:37], v[22:23]
	v_fma_f64 v[22:23], v[230:231], s[36:37], -v[22:23]
	v_add_f64 v[30:31], v[30:31], v[58:59]
	v_add_f64 v[2:3], v[2:3], v[36:37]
	v_mul_f64 v[36:37], v[234:235], s[28:29]
	v_add_f64 v[0:1], v[0:1], v[14:15]
	v_add_f64 v[4:5], v[4:5], v[12:13]
	;; [unrolled: 1-line block ×3, first 2 shown]
	v_mul_f64 v[12:13], v[234:235], s[48:49]
	v_mul_f64 v[14:15], v[232:233], s[48:49]
	v_add_f64 v[22:23], v[22:23], v[28:29]
	v_mul_f64 v[28:29], v[234:235], s[50:51]
	v_fma_f64 v[32:33], v[228:229], s[30:31], -v[36:37]
	v_fma_f64 v[36:37], v[228:229], s[30:31], v[36:37]
	v_add_f64 v[18:19], v[18:19], v[24:25]
	v_mul_f64 v[58:59], v[232:233], s[16:17]
	v_fma_f64 v[8:9], v[228:229], s[26:27], -v[12:13]
	v_fma_f64 v[12:13], v[228:229], s[26:27], v[12:13]
	v_fma_f64 v[10:11], v[230:231], s[26:27], v[14:15]
	v_fma_f64 v[14:15], v[230:231], s[26:27], -v[14:15]
	v_fma_f64 v[24:25], v[228:229], s[22:23], -v[28:29]
	v_add_f64 v[40:41], v[36:37], v[66:67]
	v_fma_f64 v[36:37], v[230:231], s[30:31], -v[42:43]
	v_fma_f64 v[28:29], v[228:229], s[22:23], v[28:29]
	v_add_f64 v[26:27], v[26:27], v[54:55]
	v_add_f64 v[12:13], v[12:13], v[50:51]
	v_mul_f64 v[50:51], v[232:233], s[44:45]
	v_add_f64 v[10:11], v[10:11], v[48:49]
	v_add_f64 v[14:15], v[14:15], v[52:53]
	v_fma_f64 v[54:55], v[230:231], s[18:19], v[58:59]
	v_add_f64 v[42:43], v[36:37], v[136:137]
	v_mul_f64 v[36:37], v[234:235], s[44:45]
	v_add_f64 v[28:29], v[28:29], v[56:57]
	v_mul_f64 v[66:67], v[232:233], s[56:57]
	v_fma_f64 v[46:47], v[230:231], s[12:13], v[50:51]
	v_add_f64 v[8:9], v[8:9], v[62:63]
	v_add_f64 v[24:25], v[24:25], v[64:65]
	;; [unrolled: 1-line block ×4, first 2 shown]
	v_fma_f64 v[44:45], v[228:229], s[12:13], -v[36:37]
	v_fma_f64 v[36:37], v[228:229], s[12:13], v[36:37]
	v_fma_f64 v[62:63], v[230:231], s[6:7], v[66:67]
	v_add_f64 v[46:47], v[46:47], v[212:213]
	v_add_f64 v[44:45], v[44:45], v[60:61]
	;; [unrolled: 1-line block ×3, first 2 shown]
	v_fma_f64 v[36:37], v[230:231], s[12:13], -v[50:51]
	v_add_f64 v[62:63], v[62:63], v[222:223]
	v_add_f64 v[50:51], v[36:37], v[218:219]
	v_mul_f64 v[36:37], v[234:235], s[16:17]
	v_fma_f64 v[52:53], v[228:229], s[18:19], -v[36:37]
	v_fma_f64 v[36:37], v[228:229], s[18:19], v[36:37]
	v_add_f64 v[52:53], v[52:53], v[142:143]
	v_add_f64 v[56:57], v[36:37], v[138:139]
	v_fma_f64 v[36:37], v[230:231], s[18:19], -v[58:59]
	v_add_f64 v[58:59], v[36:37], v[220:221]
	v_mul_f64 v[36:37], v[234:235], s[56:57]
	v_fma_f64 v[60:61], v[228:229], s[6:7], -v[36:37]
	v_fma_f64 v[36:37], v[228:229], s[6:7], v[36:37]
	v_add_f64 v[60:61], v[60:61], v[140:141]
	v_add_f64 v[64:65], v[36:37], v[224:225]
	v_fma_f64 v[36:37], v[230:231], s[6:7], -v[66:67]
	v_add_f64 v[66:67], v[36:37], v[226:227]
	ds_write_b128 v38, v[68:71]
	ds_write_b128 v38, v[0:3] offset:1360
	ds_write_b128 v38, v[8:11] offset:2720
	;; [unrolled: 1-line block ×16, first 2 shown]
	v_add_co_u32_e64 v12, s[0:1], s0, v216
	v_addc_co_u32_e64 v13, s[0:1], 0, v217, s[0:1]
	s_movk_i32 s0, 0x5000
	v_add_co_u32_e64 v4, s[0:1], s0, v216
	v_addc_co_u32_e64 v5, s[0:1], 0, v217, s[0:1]
	s_waitcnt lgkmcnt(0)
	s_barrier
	global_load_dwordx4 v[4:7], v[4:5], off offset:2640
	ds_read_b128 v[0:3], v38
	s_movk_i32 s0, 0x6000
	s_waitcnt vmcnt(0) lgkmcnt(0)
	v_mul_f64 v[8:9], v[2:3], v[6:7]
	v_fma_f64 v[8:9], v[0:1], v[4:5], -v[8:9]
	v_mul_f64 v[0:1], v[0:1], v[6:7]
	v_fma_f64 v[10:11], v[2:3], v[4:5], v[0:1]
	global_load_dwordx4 v[4:7], v[12:13], off offset:1360
	ds_read_b128 v[0:3], v38 offset:1360
	ds_write_b128 v38, v[8:11]
	s_waitcnt vmcnt(0) lgkmcnt(1)
	v_mul_f64 v[8:9], v[2:3], v[6:7]
	v_fma_f64 v[8:9], v[0:1], v[4:5], -v[8:9]
	v_mul_f64 v[0:1], v[0:1], v[6:7]
	v_fma_f64 v[10:11], v[2:3], v[4:5], v[0:1]
	global_load_dwordx4 v[4:7], v[12:13], off offset:2720
	ds_read_b128 v[0:3], v38 offset:2720
	ds_write_b128 v38, v[8:11] offset:1360
	s_waitcnt vmcnt(0) lgkmcnt(1)
	v_mul_f64 v[8:9], v[2:3], v[6:7]
	v_fma_f64 v[8:9], v[0:1], v[4:5], -v[8:9]
	v_mul_f64 v[0:1], v[0:1], v[6:7]
	v_fma_f64 v[10:11], v[2:3], v[4:5], v[0:1]
	global_load_dwordx4 v[4:7], v[12:13], off offset:4080
	ds_read_b128 v[0:3], v38 offset:4080
	ds_write_b128 v38, v[8:11] offset:2720
	s_waitcnt vmcnt(0) lgkmcnt(1)
	v_mul_f64 v[8:9], v[2:3], v[6:7]
	v_fma_f64 v[8:9], v[0:1], v[4:5], -v[8:9]
	v_mul_f64 v[0:1], v[0:1], v[6:7]
	v_fma_f64 v[10:11], v[2:3], v[4:5], v[0:1]
	v_add_co_u32_e64 v4, s[0:1], s0, v216
	v_addc_co_u32_e64 v5, s[0:1], 0, v217, s[0:1]
	global_load_dwordx4 v[4:7], v[4:5], off offset:3984
	ds_read_b128 v[0:3], v38 offset:5440
	s_movk_i32 s0, 0x7000
	ds_write_b128 v38, v[8:11] offset:4080
	v_add_co_u32_e64 v12, s[0:1], s0, v216
	v_addc_co_u32_e64 v13, s[0:1], 0, v217, s[0:1]
	s_mov_b32 s0, 0x8000
	s_waitcnt vmcnt(0) lgkmcnt(1)
	v_mul_f64 v[8:9], v[2:3], v[6:7]
	v_fma_f64 v[8:9], v[0:1], v[4:5], -v[8:9]
	v_mul_f64 v[0:1], v[0:1], v[6:7]
	v_fma_f64 v[10:11], v[2:3], v[4:5], v[0:1]
	global_load_dwordx4 v[4:7], v[12:13], off offset:1248
	ds_read_b128 v[0:3], v38 offset:6800
	ds_write_b128 v38, v[8:11] offset:5440
	s_waitcnt vmcnt(0) lgkmcnt(1)
	v_mul_f64 v[8:9], v[2:3], v[6:7]
	v_fma_f64 v[8:9], v[0:1], v[4:5], -v[8:9]
	v_mul_f64 v[0:1], v[0:1], v[6:7]
	v_fma_f64 v[10:11], v[2:3], v[4:5], v[0:1]
	global_load_dwordx4 v[4:7], v[12:13], off offset:2608
	ds_read_b128 v[0:3], v38 offset:8160
	ds_write_b128 v38, v[8:11] offset:6800
	s_waitcnt vmcnt(0) lgkmcnt(1)
	v_mul_f64 v[8:9], v[2:3], v[6:7]
	v_fma_f64 v[8:9], v[0:1], v[4:5], -v[8:9]
	v_mul_f64 v[0:1], v[0:1], v[6:7]
	v_fma_f64 v[10:11], v[2:3], v[4:5], v[0:1]
	global_load_dwordx4 v[4:7], v[12:13], off offset:3968
	ds_read_b128 v[0:3], v38 offset:9520
	v_add_co_u32_e64 v12, s[0:1], s0, v216
	v_addc_co_u32_e64 v13, s[0:1], 0, v217, s[0:1]
	s_mov_b32 s0, 0x9000
	ds_write_b128 v38, v[8:11] offset:8160
	s_waitcnt vmcnt(0) lgkmcnt(1)
	v_mul_f64 v[8:9], v[2:3], v[6:7]
	v_fma_f64 v[8:9], v[0:1], v[4:5], -v[8:9]
	v_mul_f64 v[0:1], v[0:1], v[6:7]
	v_fma_f64 v[10:11], v[2:3], v[4:5], v[0:1]
	global_load_dwordx4 v[4:7], v[12:13], off offset:1232
	ds_read_b128 v[0:3], v38 offset:10880
	ds_write_b128 v38, v[8:11] offset:9520
	s_waitcnt vmcnt(0) lgkmcnt(1)
	v_mul_f64 v[8:9], v[2:3], v[6:7]
	v_fma_f64 v[8:9], v[0:1], v[4:5], -v[8:9]
	v_mul_f64 v[0:1], v[0:1], v[6:7]
	v_fma_f64 v[10:11], v[2:3], v[4:5], v[0:1]
	global_load_dwordx4 v[4:7], v[12:13], off offset:2592
	ds_read_b128 v[0:3], v38 offset:12240
	;; [unrolled: 8-line block ×3, first 2 shown]
	v_add_co_u32_e64 v12, s[0:1], s0, v216
	v_addc_co_u32_e64 v13, s[0:1], 0, v217, s[0:1]
	s_mov_b32 s0, 0xa000
	ds_write_b128 v38, v[8:11] offset:12240
	s_waitcnt vmcnt(0) lgkmcnt(1)
	v_mul_f64 v[8:9], v[2:3], v[6:7]
	v_fma_f64 v[8:9], v[0:1], v[4:5], -v[8:9]
	v_mul_f64 v[0:1], v[0:1], v[6:7]
	v_fma_f64 v[10:11], v[2:3], v[4:5], v[0:1]
	global_load_dwordx4 v[4:7], v[12:13], off offset:1216
	ds_read_b128 v[0:3], v38 offset:14960
	ds_write_b128 v38, v[8:11] offset:13600
	s_waitcnt vmcnt(0) lgkmcnt(1)
	v_mul_f64 v[8:9], v[2:3], v[6:7]
	v_fma_f64 v[8:9], v[0:1], v[4:5], -v[8:9]
	v_mul_f64 v[0:1], v[0:1], v[6:7]
	v_fma_f64 v[10:11], v[2:3], v[4:5], v[0:1]
	global_load_dwordx4 v[4:7], v[12:13], off offset:2576
	ds_read_b128 v[0:3], v38 offset:16320
	;; [unrolled: 8-line block ×3, first 2 shown]
	v_add_co_u32_e64 v12, s[0:1], s0, v216
	v_addc_co_u32_e64 v13, s[0:1], 0, v217, s[0:1]
	ds_write_b128 v38, v[8:11] offset:16320
	s_waitcnt vmcnt(0) lgkmcnt(1)
	v_mul_f64 v[8:9], v[2:3], v[6:7]
	v_fma_f64 v[8:9], v[0:1], v[4:5], -v[8:9]
	v_mul_f64 v[0:1], v[0:1], v[6:7]
	v_fma_f64 v[10:11], v[2:3], v[4:5], v[0:1]
	global_load_dwordx4 v[4:7], v[12:13], off offset:1200
	ds_read_b128 v[0:3], v38 offset:19040
	ds_write_b128 v38, v[8:11] offset:17680
	s_waitcnt vmcnt(0) lgkmcnt(1)
	v_mul_f64 v[8:9], v[2:3], v[6:7]
	v_fma_f64 v[8:9], v[0:1], v[4:5], -v[8:9]
	v_mul_f64 v[0:1], v[0:1], v[6:7]
	v_fma_f64 v[10:11], v[2:3], v[4:5], v[0:1]
	global_load_dwordx4 v[4:7], v[12:13], off offset:2560
	ds_read_b128 v[0:3], v38 offset:20400
	;; [unrolled: 8-line block ×3, first 2 shown]
	ds_write_b128 v38, v[8:11] offset:20400
	s_waitcnt vmcnt(0) lgkmcnt(1)
	v_mul_f64 v[8:9], v[2:3], v[6:7]
	v_fma_f64 v[8:9], v[0:1], v[4:5], -v[8:9]
	v_mul_f64 v[0:1], v[0:1], v[6:7]
	v_fma_f64 v[10:11], v[2:3], v[4:5], v[0:1]
	ds_write_b128 v38, v[8:11] offset:21760
	s_waitcnt lgkmcnt(0)
	s_barrier
	ds_read_b128 v[12:15], v38
	ds_read_b128 v[16:19], v38 offset:1360
	ds_read_b128 v[4:7], v38 offset:2720
	;; [unrolled: 1-line block ×16, first 2 shown]
	s_waitcnt lgkmcnt(14)
	v_add_f64 v[26:27], v[14:15], v[18:19]
	v_add_f64 v[24:25], v[12:13], v[16:17]
	s_waitcnt lgkmcnt(0)
	s_barrier
	v_add_f64 v[26:27], v[26:27], v[6:7]
	v_add_f64 v[24:25], v[24:25], v[4:5]
	;; [unrolled: 1-line block ×30, first 2 shown]
	v_add_f64 v[18:19], v[18:19], -v[22:23]
	v_add_f64 v[208:209], v[24:25], v[20:21]
	v_add_f64 v[24:25], v[16:17], v[20:21]
	v_add_f64 v[16:17], v[16:17], -v[20:21]
	v_mul_f64 v[142:143], v[26:27], s[36:37]
	v_mul_f64 v[20:21], v[18:19], s[24:25]
	;; [unrolled: 1-line block ×9, first 2 shown]
	v_fma_f64 v[22:23], v[24:25], s[26:27], v[20:21]
	v_mul_f64 v[28:29], v[26:27], s[26:27]
	v_fma_f64 v[20:21], v[24:25], s[26:27], -v[20:21]
	v_fma_f64 v[34:35], v[24:25], s[22:23], v[32:33]
	v_mul_f64 v[36:37], v[26:27], s[22:23]
	v_fma_f64 v[32:33], v[24:25], s[22:23], -v[32:33]
	v_fma_f64 v[44:45], v[24:25], s[12:13], v[42:43]
	v_mul_f64 v[46:47], v[26:27], s[12:13]
	v_fma_f64 v[42:43], v[24:25], s[12:13], -v[42:43]
	v_fma_f64 v[52:53], v[24:25], s[6:7], v[50:51]
	v_mul_f64 v[54:55], v[26:27], s[6:7]
	v_fma_f64 v[50:51], v[24:25], s[6:7], -v[50:51]
	v_fma_f64 v[60:61], v[24:25], s[18:19], v[58:59]
	v_mul_f64 v[62:63], v[26:27], s[18:19]
	v_fma_f64 v[58:59], v[24:25], s[18:19], -v[58:59]
	v_fma_f64 v[132:133], v[24:25], s[30:31], v[66:67]
	v_mul_f64 v[134:135], v[26:27], s[30:31]
	v_fma_f64 v[66:67], v[24:25], s[30:31], -v[66:67]
	v_fma_f64 v[140:141], v[24:25], s[36:37], v[138:139]
	v_fma_f64 v[68:69], v[16:17], s[46:47], v[142:143]
	v_fma_f64 v[70:71], v[24:25], s[36:37], -v[138:139]
	v_fma_f64 v[138:139], v[16:17], s[34:35], v[142:143]
	v_fma_f64 v[142:143], v[24:25], s[40:41], v[18:19]
	v_mul_f64 v[26:27], v[26:27], s[40:41]
	v_fma_f64 v[18:19], v[24:25], s[40:41], -v[18:19]
	v_add_f64 v[22:23], v[12:13], v[22:23]
	v_fma_f64 v[30:31], v[16:17], s[48:49], v[28:29]
	v_add_f64 v[20:21], v[12:13], v[20:21]
	v_fma_f64 v[28:29], v[16:17], s[24:25], v[28:29]
	;; [unrolled: 2-line block ×12, first 2 shown]
	v_add_f64 v[140:141], v[12:13], v[140:141]
	v_add_f64 v[70:71], v[12:13], v[70:71]
	;; [unrolled: 1-line block ×3, first 2 shown]
	v_fma_f64 v[72:73], v[16:17], s[52:53], v[26:27]
	v_add_f64 v[12:13], v[12:13], v[18:19]
	v_fma_f64 v[16:17], v[16:17], s[38:39], v[26:27]
	v_add_f64 v[18:19], v[6:7], v[10:11]
	v_add_f64 v[6:7], v[6:7], -v[10:11]
	v_add_f64 v[30:31], v[14:15], v[30:31]
	v_add_f64 v[28:29], v[14:15], v[28:29]
	;; [unrolled: 1-line block ×17, first 2 shown]
	v_add_f64 v[4:5], v[4:5], -v[8:9]
	v_mul_f64 v[8:9], v[6:7], s[20:21]
	v_fma_f64 v[10:11], v[16:17], s[22:23], v[8:9]
	v_fma_f64 v[8:9], v[16:17], s[22:23], -v[8:9]
	v_add_f64 v[10:11], v[10:11], v[22:23]
	v_mul_f64 v[22:23], v[18:19], s[22:23]
	v_add_f64 v[8:9], v[8:9], v[20:21]
	v_fma_f64 v[24:25], v[4:5], s[50:51], v[22:23]
	v_fma_f64 v[20:21], v[4:5], s[20:21], v[22:23]
	v_mul_f64 v[22:23], v[6:7], s[4:5]
	v_add_f64 v[24:25], v[24:25], v[30:31]
	v_add_f64 v[20:21], v[20:21], v[28:29]
	v_fma_f64 v[26:27], v[16:17], s[6:7], v[22:23]
	v_mul_f64 v[28:29], v[18:19], s[6:7]
	v_fma_f64 v[22:23], v[16:17], s[6:7], -v[22:23]
	v_add_f64 v[26:27], v[26:27], v[34:35]
	v_fma_f64 v[30:31], v[4:5], s[56:57], v[28:29]
	v_add_f64 v[22:23], v[22:23], v[32:33]
	v_fma_f64 v[28:29], v[4:5], s[4:5], v[28:29]
	v_mul_f64 v[32:33], v[6:7], s[28:29]
	v_add_f64 v[30:31], v[30:31], v[40:41]
	v_add_f64 v[28:29], v[28:29], v[36:37]
	v_fma_f64 v[34:35], v[16:17], s[30:31], v[32:33]
	v_mul_f64 v[36:37], v[18:19], s[30:31]
	v_fma_f64 v[32:33], v[16:17], s[30:31], -v[32:33]
	v_add_f64 v[34:35], v[34:35], v[44:45]
	v_fma_f64 v[40:41], v[4:5], s[54:55], v[36:37]
	v_add_f64 v[32:33], v[32:33], v[42:43]
	;; [unrolled: 10-line block ×5, first 2 shown]
	v_fma_f64 v[62:63], v[4:5], s[42:43], v[62:63]
	v_mul_f64 v[66:67], v[6:7], s[44:45]
	v_mul_f64 v[132:133], v[18:19], s[12:13]
	;; [unrolled: 1-line block ×4, first 2 shown]
	v_add_f64 v[64:65], v[64:65], v[136:137]
	v_add_f64 v[136:137], v[214:215], v[218:219]
	;; [unrolled: 1-line block ×3, first 2 shown]
	v_fma_f64 v[74:75], v[16:17], s[12:13], v[66:67]
	v_fma_f64 v[134:135], v[4:5], s[14:15], v[132:133]
	v_fma_f64 v[66:67], v[16:17], s[12:13], -v[66:67]
	v_add_f64 v[74:75], v[74:75], v[140:141]
	v_add_f64 v[68:69], v[134:135], v[68:69]
	;; [unrolled: 1-line block ×3, first 2 shown]
	v_fma_f64 v[70:71], v[4:5], s[44:45], v[132:133]
	v_fma_f64 v[134:135], v[4:5], s[24:25], v[18:19]
	;; [unrolled: 1-line block ×4, first 2 shown]
	v_fma_f64 v[6:7], v[16:17], s[26:27], -v[6:7]
	v_add_f64 v[140:141], v[214:215], -v[218:219]
	v_add_f64 v[70:71], v[70:71], v[138:139]
	v_add_f64 v[72:73], v[134:135], v[72:73]
	;; [unrolled: 1-line block ×4, first 2 shown]
	v_add_f64 v[2:3], v[254:255], -v[2:3]
	v_add_f64 v[6:7], v[6:7], v[12:13]
	v_add_f64 v[12:13], v[252:253], v[0:1]
	v_add_f64 v[0:1], v[252:253], -v[0:1]
	v_add_f64 v[132:133], v[132:133], v[142:143]
	v_add_f64 v[138:139], v[212:213], -v[216:217]
	v_mul_f64 v[16:17], v[2:3], s[14:15]
	v_fma_f64 v[18:19], v[12:13], s[12:13], v[16:17]
	v_fma_f64 v[16:17], v[12:13], s[12:13], -v[16:17]
	v_add_f64 v[10:11], v[18:19], v[10:11]
	v_mul_f64 v[18:19], v[14:15], s[12:13]
	v_add_f64 v[8:9], v[16:17], v[8:9]
	v_fma_f64 v[134:135], v[0:1], s[44:45], v[18:19]
	v_fma_f64 v[16:17], v[0:1], s[14:15], v[18:19]
	v_mul_f64 v[18:19], v[2:3], s[28:29]
	v_add_f64 v[24:25], v[134:135], v[24:25]
	v_add_f64 v[16:17], v[16:17], v[20:21]
	v_fma_f64 v[20:21], v[12:13], s[30:31], v[18:19]
	v_fma_f64 v[18:19], v[12:13], s[30:31], -v[18:19]
	v_add_f64 v[20:21], v[20:21], v[26:27]
	v_mul_f64 v[26:27], v[14:15], s[30:31]
	v_add_f64 v[18:19], v[18:19], v[22:23]
	v_fma_f64 v[134:135], v[0:1], s[54:55], v[26:27]
	v_fma_f64 v[22:23], v[0:1], s[28:29], v[26:27]
	v_mul_f64 v[26:27], v[2:3], s[52:53]
	v_add_f64 v[30:31], v[134:135], v[30:31]
	v_add_f64 v[22:23], v[22:23], v[28:29]
	;; [unrolled: 10-line block ×5, first 2 shown]
	v_fma_f64 v[54:55], v[12:13], s[26:27], v[52:53]
	v_fma_f64 v[52:53], v[12:13], s[26:27], -v[52:53]
	v_add_f64 v[54:55], v[54:55], v[60:61]
	v_mul_f64 v[60:61], v[14:15], s[26:27]
	v_add_f64 v[52:53], v[52:53], v[58:59]
	v_fma_f64 v[134:135], v[0:1], s[48:49], v[60:61]
	v_fma_f64 v[58:59], v[0:1], s[24:25], v[60:61]
	v_mul_f64 v[60:61], v[2:3], s[4:5]
	v_mul_f64 v[2:3], v[2:3], s[34:35]
	v_add_f64 v[64:65], v[134:135], v[64:65]
	v_add_f64 v[58:59], v[58:59], v[62:63]
	v_fma_f64 v[62:63], v[12:13], s[6:7], v[60:61]
	v_fma_f64 v[60:61], v[12:13], s[6:7], -v[60:61]
	v_add_f64 v[62:63], v[62:63], v[74:75]
	v_mul_f64 v[74:75], v[14:15], s[6:7]
	v_mul_f64 v[14:15], v[14:15], s[36:37]
	v_add_f64 v[60:61], v[60:61], v[66:67]
	v_fma_f64 v[134:135], v[0:1], s[56:57], v[74:75]
	v_fma_f64 v[66:67], v[0:1], s[4:5], v[74:75]
	v_fma_f64 v[74:75], v[0:1], s[46:47], v[14:15]
	v_fma_f64 v[0:1], v[0:1], s[34:35], v[14:15]
	v_add_f64 v[14:15], v[246:247], -v[250:251]
	v_add_f64 v[68:69], v[134:135], v[68:69]
	v_add_f64 v[66:67], v[66:67], v[70:71]
	v_fma_f64 v[70:71], v[12:13], s[36:37], v[2:3]
	v_add_f64 v[72:73], v[74:75], v[72:73]
	v_fma_f64 v[2:3], v[12:13], s[36:37], -v[2:3]
	v_add_f64 v[0:1], v[0:1], v[4:5]
	v_add_f64 v[4:5], v[244:245], v[248:249]
	v_mul_f64 v[74:75], v[14:15], s[4:5]
	v_add_f64 v[12:13], v[244:245], -v[248:249]
	v_add_f64 v[70:71], v[70:71], v[132:133]
	v_add_f64 v[2:3], v[2:3], v[6:7]
	v_add_f64 v[6:7], v[246:247], v[250:251]
	v_fma_f64 v[132:133], v[4:5], s[6:7], v[74:75]
	v_fma_f64 v[74:75], v[4:5], s[6:7], -v[74:75]
	v_add_f64 v[10:11], v[132:133], v[10:11]
	v_mul_f64 v[132:133], v[6:7], s[6:7]
	v_add_f64 v[8:9], v[74:75], v[8:9]
	v_fma_f64 v[74:75], v[12:13], s[4:5], v[132:133]
	v_fma_f64 v[134:135], v[12:13], s[56:57], v[132:133]
	v_add_f64 v[16:17], v[74:75], v[16:17]
	v_mul_f64 v[74:75], v[14:15], s[38:39]
	v_add_f64 v[24:25], v[134:135], v[24:25]
	v_fma_f64 v[132:133], v[4:5], s[40:41], v[74:75]
	v_fma_f64 v[74:75], v[4:5], s[40:41], -v[74:75]
	v_add_f64 v[20:21], v[132:133], v[20:21]
	v_mul_f64 v[132:133], v[6:7], s[40:41]
	v_add_f64 v[18:19], v[74:75], v[18:19]
	v_fma_f64 v[74:75], v[12:13], s[38:39], v[132:133]
	v_fma_f64 v[134:135], v[12:13], s[52:53], v[132:133]
	v_add_f64 v[22:23], v[74:75], v[22:23]
	v_mul_f64 v[74:75], v[14:15], s[42:43]
	v_add_f64 v[30:31], v[134:135], v[30:31]
	;; [unrolled: 10-line block ×5, first 2 shown]
	v_fma_f64 v[132:133], v[4:5], s[36:37], v[74:75]
	v_fma_f64 v[74:75], v[4:5], s[36:37], -v[74:75]
	v_add_f64 v[54:55], v[132:133], v[54:55]
	v_mul_f64 v[132:133], v[6:7], s[36:37]
	v_add_f64 v[52:53], v[74:75], v[52:53]
	v_fma_f64 v[74:75], v[12:13], s[34:35], v[132:133]
	v_fma_f64 v[134:135], v[12:13], s[46:47], v[132:133]
	v_add_f64 v[58:59], v[74:75], v[58:59]
	v_mul_f64 v[74:75], v[14:15], s[54:55]
	v_mul_f64 v[14:15], v[14:15], s[50:51]
	v_add_f64 v[64:65], v[134:135], v[64:65]
	v_fma_f64 v[132:133], v[4:5], s[30:31], v[74:75]
	v_fma_f64 v[74:75], v[4:5], s[30:31], -v[74:75]
	v_add_f64 v[62:63], v[132:133], v[62:63]
	v_mul_f64 v[132:133], v[6:7], s[30:31]
	v_add_f64 v[60:61], v[74:75], v[60:61]
	v_mul_f64 v[6:7], v[6:7], s[22:23]
	v_fma_f64 v[74:75], v[12:13], s[54:55], v[132:133]
	v_fma_f64 v[134:135], v[12:13], s[28:29], v[132:133]
	v_add_f64 v[66:67], v[74:75], v[66:67]
	v_fma_f64 v[74:75], v[4:5], s[22:23], v[14:15]
	v_fma_f64 v[4:5], v[4:5], s[22:23], -v[14:15]
	v_add_f64 v[14:15], v[238:239], -v[242:243]
	v_add_f64 v[68:69], v[134:135], v[68:69]
	v_add_f64 v[70:71], v[74:75], v[70:71]
	v_fma_f64 v[74:75], v[12:13], s[20:21], v[6:7]
	v_add_f64 v[2:3], v[4:5], v[2:3]
	v_fma_f64 v[4:5], v[12:13], s[50:51], v[6:7]
	v_add_f64 v[6:7], v[238:239], v[242:243]
	v_add_f64 v[12:13], v[236:237], -v[240:241]
	v_add_f64 v[72:73], v[74:75], v[72:73]
	v_mul_f64 v[74:75], v[14:15], s[16:17]
	v_add_f64 v[0:1], v[4:5], v[0:1]
	v_add_f64 v[4:5], v[236:237], v[240:241]
	v_fma_f64 v[132:133], v[4:5], s[18:19], v[74:75]
	v_fma_f64 v[74:75], v[4:5], s[18:19], -v[74:75]
	v_add_f64 v[10:11], v[132:133], v[10:11]
	v_mul_f64 v[132:133], v[6:7], s[18:19]
	v_add_f64 v[8:9], v[74:75], v[8:9]
	v_fma_f64 v[74:75], v[12:13], s[16:17], v[132:133]
	v_fma_f64 v[134:135], v[12:13], s[42:43], v[132:133]
	v_add_f64 v[16:17], v[74:75], v[16:17]
	v_mul_f64 v[74:75], v[14:15], s[46:47]
	v_add_f64 v[24:25], v[134:135], v[24:25]
	v_fma_f64 v[132:133], v[4:5], s[36:37], v[74:75]
	v_fma_f64 v[74:75], v[4:5], s[36:37], -v[74:75]
	v_add_f64 v[20:21], v[132:133], v[20:21]
	v_mul_f64 v[132:133], v[6:7], s[36:37]
	v_add_f64 v[18:19], v[74:75], v[18:19]
	v_fma_f64 v[74:75], v[12:13], s[46:47], v[132:133]
	v_fma_f64 v[134:135], v[12:13], s[34:35], v[132:133]
	v_add_f64 v[22:23], v[74:75], v[22:23]
	v_mul_f64 v[74:75], v[14:15], s[50:51]
	;; [unrolled: 10-line block ×6, first 2 shown]
	v_mul_f64 v[14:15], v[14:15], s[28:29]
	v_add_f64 v[64:65], v[134:135], v[64:65]
	v_fma_f64 v[132:133], v[4:5], s[26:27], v[74:75]
	v_fma_f64 v[74:75], v[4:5], s[26:27], -v[74:75]
	v_add_f64 v[62:63], v[132:133], v[62:63]
	v_mul_f64 v[132:133], v[6:7], s[26:27]
	v_add_f64 v[60:61], v[74:75], v[60:61]
	v_mul_f64 v[6:7], v[6:7], s[30:31]
	v_fma_f64 v[74:75], v[12:13], s[24:25], v[132:133]
	v_fma_f64 v[134:135], v[12:13], s[48:49], v[132:133]
	v_add_f64 v[66:67], v[74:75], v[66:67]
	v_fma_f64 v[74:75], v[4:5], s[30:31], v[14:15]
	v_fma_f64 v[4:5], v[4:5], s[30:31], -v[14:15]
	v_add_f64 v[14:15], v[230:231], -v[234:235]
	v_add_f64 v[68:69], v[134:135], v[68:69]
	v_add_f64 v[70:71], v[74:75], v[70:71]
	v_fma_f64 v[74:75], v[12:13], s[54:55], v[6:7]
	v_add_f64 v[2:3], v[4:5], v[2:3]
	v_fma_f64 v[4:5], v[12:13], s[28:29], v[6:7]
	v_add_f64 v[6:7], v[230:231], v[234:235]
	v_add_f64 v[12:13], v[228:229], -v[232:233]
	v_add_f64 v[72:73], v[74:75], v[72:73]
	v_mul_f64 v[74:75], v[14:15], s[28:29]
	v_add_f64 v[0:1], v[4:5], v[0:1]
	v_add_f64 v[4:5], v[228:229], v[232:233]
	v_fma_f64 v[132:133], v[4:5], s[30:31], v[74:75]
	v_fma_f64 v[74:75], v[4:5], s[30:31], -v[74:75]
	v_add_f64 v[10:11], v[132:133], v[10:11]
	v_mul_f64 v[132:133], v[6:7], s[30:31]
	v_add_f64 v[8:9], v[74:75], v[8:9]
	v_fma_f64 v[74:75], v[12:13], s[28:29], v[132:133]
	v_fma_f64 v[134:135], v[12:13], s[54:55], v[132:133]
	v_add_f64 v[16:17], v[74:75], v[16:17]
	v_mul_f64 v[74:75], v[14:15], s[42:43]
	v_add_f64 v[24:25], v[134:135], v[24:25]
	v_fma_f64 v[132:133], v[4:5], s[18:19], v[74:75]
	v_fma_f64 v[74:75], v[4:5], s[18:19], -v[74:75]
	v_add_f64 v[20:21], v[132:133], v[20:21]
	v_mul_f64 v[132:133], v[6:7], s[18:19]
	v_add_f64 v[18:19], v[74:75], v[18:19]
	v_fma_f64 v[74:75], v[12:13], s[42:43], v[132:133]
	v_fma_f64 v[134:135], v[12:13], s[16:17], v[132:133]
	v_add_f64 v[22:23], v[74:75], v[22:23]
	v_mul_f64 v[74:75], v[14:15], s[24:25]
	;; [unrolled: 10-line block ×6, first 2 shown]
	v_mul_f64 v[14:15], v[14:15], s[44:45]
	v_add_f64 v[64:65], v[134:135], v[64:65]
	v_fma_f64 v[132:133], v[4:5], s[40:41], v[74:75]
	v_fma_f64 v[74:75], v[4:5], s[40:41], -v[74:75]
	v_add_f64 v[62:63], v[132:133], v[62:63]
	v_mul_f64 v[132:133], v[6:7], s[40:41]
	v_add_f64 v[60:61], v[74:75], v[60:61]
	v_mul_f64 v[6:7], v[6:7], s[12:13]
	v_fma_f64 v[74:75], v[12:13], s[38:39], v[132:133]
	v_fma_f64 v[134:135], v[12:13], s[52:53], v[132:133]
	v_add_f64 v[66:67], v[74:75], v[66:67]
	v_fma_f64 v[74:75], v[4:5], s[12:13], v[14:15]
	v_fma_f64 v[4:5], v[4:5], s[12:13], -v[14:15]
	v_add_f64 v[14:15], v[222:223], -v[226:227]
	v_add_f64 v[68:69], v[134:135], v[68:69]
	v_add_f64 v[70:71], v[74:75], v[70:71]
	v_fma_f64 v[74:75], v[12:13], s[14:15], v[6:7]
	v_add_f64 v[2:3], v[4:5], v[2:3]
	v_fma_f64 v[4:5], v[12:13], s[44:45], v[6:7]
	v_add_f64 v[6:7], v[222:223], v[226:227]
	v_add_f64 v[12:13], v[220:221], -v[224:225]
	v_add_f64 v[72:73], v[74:75], v[72:73]
	v_mul_f64 v[74:75], v[14:15], s[34:35]
	v_add_f64 v[0:1], v[4:5], v[0:1]
	v_add_f64 v[4:5], v[220:221], v[224:225]
	v_fma_f64 v[132:133], v[4:5], s[36:37], v[74:75]
	v_fma_f64 v[74:75], v[4:5], s[36:37], -v[74:75]
	v_add_f64 v[10:11], v[132:133], v[10:11]
	v_mul_f64 v[132:133], v[6:7], s[36:37]
	v_add_f64 v[8:9], v[74:75], v[8:9]
	v_fma_f64 v[74:75], v[12:13], s[34:35], v[132:133]
	v_fma_f64 v[134:135], v[12:13], s[46:47], v[132:133]
	v_add_f64 v[16:17], v[74:75], v[16:17]
	v_mul_f64 v[74:75], v[14:15], s[44:45]
	v_add_f64 v[24:25], v[134:135], v[24:25]
	v_fma_f64 v[132:133], v[4:5], s[12:13], v[74:75]
	v_fma_f64 v[74:75], v[4:5], s[12:13], -v[74:75]
	v_add_f64 v[20:21], v[132:133], v[20:21]
	v_mul_f64 v[132:133], v[6:7], s[12:13]
	v_add_f64 v[18:19], v[74:75], v[18:19]
	v_fma_f64 v[74:75], v[12:13], s[44:45], v[132:133]
	v_fma_f64 v[134:135], v[12:13], s[14:15], v[132:133]
	v_add_f64 v[22:23], v[74:75], v[22:23]
	v_mul_f64 v[74:75], v[14:15], s[4:5]
	v_add_f64 v[30:31], v[134:135], v[30:31]
	v_fma_f64 v[132:133], v[4:5], s[6:7], v[74:75]
	v_fma_f64 v[74:75], v[4:5], s[6:7], -v[74:75]
	v_add_f64 v[28:29], v[132:133], v[28:29]
	v_mul_f64 v[132:133], v[6:7], s[6:7]
	v_add_f64 v[26:27], v[74:75], v[26:27]
	v_fma_f64 v[74:75], v[12:13], s[4:5], v[132:133]
	v_fma_f64 v[134:135], v[12:13], s[56:57], v[132:133]
	v_add_f64 v[32:33], v[74:75], v[32:33]
	v_mul_f64 v[74:75], v[14:15], s[54:55]
	v_add_f64 v[40:41], v[134:135], v[40:41]
	v_fma_f64 v[132:133], v[4:5], s[30:31], v[74:75]
	v_fma_f64 v[74:75], v[4:5], s[30:31], -v[74:75]
	v_add_f64 v[36:37], v[132:133], v[36:37]
	v_mul_f64 v[132:133], v[6:7], s[30:31]
	v_add_f64 v[34:35], v[74:75], v[34:35]
	v_fma_f64 v[74:75], v[12:13], s[54:55], v[132:133]
	v_fma_f64 v[134:135], v[12:13], s[28:29], v[132:133]
	v_add_f64 v[42:43], v[74:75], v[42:43]
	v_mul_f64 v[74:75], v[14:15], s[24:25]
	v_add_f64 v[48:49], v[134:135], v[48:49]
	v_fma_f64 v[132:133], v[4:5], s[26:27], v[74:75]
	v_fma_f64 v[74:75], v[4:5], s[26:27], -v[74:75]
	v_add_f64 v[46:47], v[132:133], v[46:47]
	v_mul_f64 v[132:133], v[6:7], s[26:27]
	v_add_f64 v[44:45], v[74:75], v[44:45]
	v_fma_f64 v[74:75], v[12:13], s[24:25], v[132:133]
	v_fma_f64 v[134:135], v[12:13], s[48:49], v[132:133]
	v_add_f64 v[50:51], v[74:75], v[50:51]
	v_mul_f64 v[74:75], v[14:15], s[38:39]
	v_add_f64 v[56:57], v[134:135], v[56:57]
	v_fma_f64 v[132:133], v[4:5], s[40:41], v[74:75]
	v_fma_f64 v[74:75], v[4:5], s[40:41], -v[74:75]
	v_add_f64 v[54:55], v[132:133], v[54:55]
	v_mul_f64 v[132:133], v[6:7], s[40:41]
	v_add_f64 v[52:53], v[74:75], v[52:53]
	v_fma_f64 v[74:75], v[12:13], s[38:39], v[132:133]
	v_fma_f64 v[134:135], v[12:13], s[52:53], v[132:133]
	v_add_f64 v[58:59], v[74:75], v[58:59]
	v_mul_f64 v[74:75], v[14:15], s[50:51]
	v_mul_f64 v[14:15], v[14:15], s[16:17]
	v_add_f64 v[64:65], v[134:135], v[64:65]
	v_fma_f64 v[132:133], v[4:5], s[22:23], v[74:75]
	v_fma_f64 v[74:75], v[4:5], s[22:23], -v[74:75]
	v_add_f64 v[62:63], v[132:133], v[62:63]
	v_mul_f64 v[132:133], v[6:7], s[22:23]
	v_add_f64 v[60:61], v[74:75], v[60:61]
	v_mul_f64 v[6:7], v[6:7], s[18:19]
	v_fma_f64 v[74:75], v[12:13], s[50:51], v[132:133]
	v_fma_f64 v[134:135], v[12:13], s[20:21], v[132:133]
	v_add_f64 v[66:67], v[74:75], v[66:67]
	v_fma_f64 v[74:75], v[4:5], s[18:19], v[14:15]
	v_fma_f64 v[4:5], v[4:5], s[18:19], -v[14:15]
	v_add_f64 v[68:69], v[134:135], v[68:69]
	v_add_f64 v[134:135], v[212:213], v[216:217]
	v_mul_f64 v[14:15], v[136:137], s[36:37]
	v_add_f64 v[70:71], v[74:75], v[70:71]
	v_fma_f64 v[74:75], v[12:13], s[42:43], v[6:7]
	v_add_f64 v[72:73], v[74:75], v[72:73]
	v_add_f64 v[74:75], v[4:5], v[2:3]
	v_fma_f64 v[2:3], v[12:13], s[16:17], v[6:7]
	v_mul_f64 v[4:5], v[140:141], s[38:39]
	v_mul_f64 v[6:7], v[136:137], s[40:41]
	;; [unrolled: 1-line block ×3, first 2 shown]
	v_add_f64 v[132:133], v[2:3], v[0:1]
	v_fma_f64 v[0:1], v[134:135], s[40:41], v[4:5]
	v_fma_f64 v[4:5], v[134:135], s[40:41], -v[4:5]
	v_fma_f64 v[2:3], v[138:139], s[52:53], v[6:7]
	v_add_f64 v[0:1], v[0:1], v[10:11]
	v_add_f64 v[216:217], v[4:5], v[8:9]
	v_fma_f64 v[4:5], v[138:139], s[38:39], v[6:7]
	v_mul_f64 v[8:9], v[140:141], s[48:49]
	v_mul_f64 v[10:11], v[136:137], s[26:27]
	v_add_f64 v[2:3], v[2:3], v[24:25]
	v_add_f64 v[218:219], v[4:5], v[16:17]
	v_fma_f64 v[4:5], v[134:135], s[26:27], v[8:9]
	v_fma_f64 v[8:9], v[134:135], s[26:27], -v[8:9]
	v_fma_f64 v[6:7], v[138:139], s[24:25], v[10:11]
	v_add_f64 v[4:5], v[4:5], v[20:21]
	v_add_f64 v[212:213], v[8:9], v[18:19]
	v_fma_f64 v[8:9], v[138:139], s[48:49], v[10:11]
	v_mul_f64 v[20:21], v[140:141], s[50:51]
	v_fma_f64 v[10:11], v[138:139], s[46:47], v[14:15]
	v_fma_f64 v[14:15], v[138:139], s[34:35], v[14:15]
	v_add_f64 v[6:7], v[6:7], v[30:31]
	v_mul_f64 v[30:31], v[136:137], s[30:31]
	v_add_f64 v[214:215], v[8:9], v[22:23]
	v_fma_f64 v[16:17], v[134:135], s[22:23], v[20:21]
	v_mul_f64 v[22:23], v[136:137], s[22:23]
	v_fma_f64 v[8:9], v[134:135], s[36:37], v[12:13]
	v_add_f64 v[14:15], v[14:15], v[32:33]
	v_add_f64 v[10:11], v[10:11], v[40:41]
	v_fma_f64 v[12:13], v[134:135], s[36:37], -v[12:13]
	v_fma_f64 v[20:21], v[134:135], s[22:23], -v[20:21]
	v_add_f64 v[16:17], v[16:17], v[36:37]
	v_fma_f64 v[18:19], v[138:139], s[20:21], v[22:23]
	v_fma_f64 v[22:23], v[138:139], s[50:51], v[22:23]
	v_mul_f64 v[36:37], v[140:141], s[44:45]
	v_add_f64 v[8:9], v[8:9], v[28:29]
	v_mul_f64 v[28:29], v[140:141], s[28:29]
	v_add_f64 v[12:13], v[12:13], v[26:27]
	v_add_f64 v[20:21], v[20:21], v[34:35]
	v_fma_f64 v[26:27], v[138:139], s[54:55], v[30:31]
	v_fma_f64 v[30:31], v[138:139], s[28:29], v[30:31]
	v_add_f64 v[22:23], v[22:23], v[42:43]
	v_fma_f64 v[32:33], v[134:135], s[12:13], v[36:37]
	v_mul_f64 v[42:43], v[136:137], s[12:13]
	v_fma_f64 v[36:37], v[134:135], s[12:13], -v[36:37]
	v_fma_f64 v[24:25], v[134:135], s[30:31], v[28:29]
	v_fma_f64 v[28:29], v[134:135], s[30:31], -v[28:29]
	v_add_f64 v[18:19], v[18:19], v[48:49]
	v_add_f64 v[30:31], v[30:31], v[50:51]
	v_mul_f64 v[50:51], v[136:137], s[18:19]
	v_add_f64 v[26:27], v[26:27], v[56:57]
	v_fma_f64 v[34:35], v[138:139], s[14:15], v[42:43]
	v_add_f64 v[40:41], v[36:37], v[52:53]
	v_fma_f64 v[36:37], v[138:139], s[44:45], v[42:43]
	v_add_f64 v[28:29], v[28:29], v[44:45]
	v_add_f64 v[24:25], v[24:25], v[46:47]
	;; [unrolled: 1-line block ×3, first 2 shown]
	v_fma_f64 v[46:47], v[138:139], s[42:43], v[50:51]
	v_add_f64 v[34:35], v[34:35], v[64:65]
	v_add_f64 v[42:43], v[36:37], v[58:59]
	v_mul_f64 v[36:37], v[140:141], s[16:17]
	v_mul_f64 v[58:59], v[136:137], s[6:7]
	v_add_f64 v[46:47], v[46:47], v[68:69]
	v_fma_f64 v[44:45], v[134:135], s[18:19], v[36:37]
	v_fma_f64 v[36:37], v[134:135], s[18:19], -v[36:37]
	v_fma_f64 v[54:55], v[138:139], s[4:5], v[58:59]
	v_add_f64 v[44:45], v[44:45], v[62:63]
	v_add_f64 v[48:49], v[36:37], v[60:61]
	v_fma_f64 v[36:37], v[138:139], s[16:17], v[50:51]
	v_add_f64 v[54:55], v[54:55], v[72:73]
	v_add_f64 v[50:51], v[36:37], v[66:67]
	v_mul_f64 v[36:37], v[140:141], s[56:57]
	v_fma_f64 v[52:53], v[134:135], s[6:7], v[36:37]
	v_fma_f64 v[36:37], v[134:135], s[6:7], -v[36:37]
	v_add_f64 v[52:53], v[52:53], v[70:71]
	v_add_f64 v[56:57], v[36:37], v[74:75]
	v_fma_f64 v[36:37], v[138:139], s[56:57], v[58:59]
	v_add_f64 v[58:59], v[36:37], v[132:133]
	ds_write_b128 v39, v[208:211]
	ds_write_b128 v39, v[0:3] offset:16
	ds_write_b128 v39, v[4:7] offset:32
	ds_write_b128 v39, v[8:11] offset:48
	ds_write_b128 v39, v[16:19] offset:64
	ds_write_b128 v39, v[24:27] offset:80
	ds_write_b128 v39, v[32:35] offset:96
	ds_write_b128 v39, v[44:47] offset:112
	ds_write_b128 v39, v[52:55] offset:128
	ds_write_b128 v39, v[56:59] offset:144
	ds_write_b128 v39, v[48:51] offset:160
	ds_write_b128 v39, v[40:43] offset:176
	ds_write_b128 v39, v[28:31] offset:192
	ds_write_b128 v39, v[20:23] offset:208
	ds_write_b128 v39, v[12:15] offset:224
	ds_write_b128 v39, v[212:215] offset:240
	ds_write_b128 v39, v[216:219] offset:256
	s_waitcnt lgkmcnt(0)
	s_barrier
	ds_read_b128 v[220:223], v38
	ds_read_b128 v[16:19], v38 offset:4624
	ds_read_b128 v[252:255], v38 offset:9248
	ds_read_b128 v[248:251], v38 offset:13872
	ds_read_b128 v[244:247], v38 offset:18496
	ds_read_b128 v[0:3], v38 offset:1360
	ds_read_b128 v[240:243], v38 offset:5984
	ds_read_b128 v[236:239], v38 offset:10608
	ds_read_b128 v[232:235], v38 offset:15232
	ds_read_b128 v[228:231], v38 offset:19856
	ds_read_b128 v[208:211], v38 offset:2720
	ds_read_b128 v[224:227], v38 offset:7344
	ds_read_b128 v[12:15], v38 offset:11968
	ds_read_b128 v[8:11], v38 offset:16592
	ds_read_b128 v[4:7], v38 offset:21216
	s_and_saveexec_b64 s[0:1], vcc
	s_cbranch_execz .LBB0_7
; %bb.6:
	ds_read_b128 v[212:215], v38 offset:4080
	ds_read_b128 v[216:219], v38 offset:8704
	;; [unrolled: 1-line block ×3, first 2 shown]
	s_waitcnt lgkmcnt(0)
	buffer_store_dword v20, off, s[60:63], 0 offset:20 ; 4-byte Folded Spill
	s_nop 0
	buffer_store_dword v21, off, s[60:63], 0 offset:24 ; 4-byte Folded Spill
	buffer_store_dword v22, off, s[60:63], 0 offset:28 ; 4-byte Folded Spill
	;; [unrolled: 1-line block ×3, first 2 shown]
	ds_read_b128 v[20:23], v38 offset:17952
	s_waitcnt lgkmcnt(0)
	buffer_store_dword v20, off, s[60:63], 0 offset:36 ; 4-byte Folded Spill
	s_nop 0
	buffer_store_dword v21, off, s[60:63], 0 offset:40 ; 4-byte Folded Spill
	buffer_store_dword v22, off, s[60:63], 0 offset:44 ; 4-byte Folded Spill
	;; [unrolled: 1-line block ×3, first 2 shown]
	ds_read_b128 v[20:23], v38 offset:22576
	s_waitcnt lgkmcnt(0)
	buffer_store_dword v20, off, s[60:63], 0 offset:4 ; 4-byte Folded Spill
	s_nop 0
	buffer_store_dword v21, off, s[60:63], 0 offset:8 ; 4-byte Folded Spill
	buffer_store_dword v22, off, s[60:63], 0 offset:12 ; 4-byte Folded Spill
	;; [unrolled: 1-line block ×3, first 2 shown]
.LBB0_7:
	s_or_b64 exec, exec, s[0:1]
	s_waitcnt lgkmcnt(13)
	v_mul_f64 v[20:21], v[98:99], v[18:19]
	s_mov_b32 s4, 0x134454ff
	s_mov_b32 s5, 0xbfee6f0e
	;; [unrolled: 1-line block ×7, first 2 shown]
	v_fma_f64 v[39:40], v[96:97], v[16:17], v[20:21]
	v_mul_f64 v[16:17], v[98:99], v[16:17]
	s_mov_b32 s12, s6
	s_mov_b32 s0, 0x372fe950
	;; [unrolled: 1-line block ×3, first 2 shown]
	s_waitcnt vmcnt(0) lgkmcnt(0)
	s_barrier
	v_fma_f64 v[41:42], v[96:97], v[18:19], -v[16:17]
	v_mul_f64 v[16:17], v[94:95], v[254:255]
	v_mul_f64 v[18:19], v[126:127], v[14:15]
	v_fma_f64 v[43:44], v[92:93], v[252:253], v[16:17]
	v_mul_f64 v[16:17], v[94:95], v[252:253]
	v_fma_f64 v[22:23], v[124:125], v[12:13], v[18:19]
	v_mul_f64 v[12:13], v[126:127], v[12:13]
	v_fma_f64 v[45:46], v[92:93], v[254:255], -v[16:17]
	v_mul_f64 v[16:17], v[90:91], v[250:251]
	v_fma_f64 v[18:19], v[124:125], v[14:15], -v[12:13]
	v_mul_f64 v[12:13], v[122:123], v[10:11]
	v_fma_f64 v[47:48], v[88:89], v[248:249], v[16:17]
	v_mul_f64 v[16:17], v[90:91], v[248:249]
	v_fma_f64 v[49:50], v[88:89], v[250:251], -v[16:17]
	v_mul_f64 v[16:17], v[86:87], v[246:247]
	v_fma_f64 v[51:52], v[84:85], v[244:245], v[16:17]
	v_mul_f64 v[16:17], v[86:87], v[244:245]
	v_add_f64 v[14:15], v[51:52], -v[47:48]
	v_fma_f64 v[53:54], v[84:85], v[246:247], -v[16:17]
	v_mul_f64 v[16:17], v[114:115], v[242:243]
	v_fma_f64 v[32:33], v[112:113], v[240:241], v[16:17]
	v_mul_f64 v[16:17], v[114:115], v[240:241]
	v_fma_f64 v[24:25], v[112:113], v[242:243], -v[16:17]
	v_mul_f64 v[16:17], v[110:111], v[238:239]
	v_fma_f64 v[34:35], v[108:109], v[236:237], v[16:17]
	v_mul_f64 v[16:17], v[110:111], v[236:237]
	;; [unrolled: 4-line block ×3, first 2 shown]
	v_add_f64 v[12:13], v[39:40], -v[43:44]
	v_fma_f64 v[36:37], v[104:105], v[232:233], v[16:17]
	v_mul_f64 v[16:17], v[106:107], v[232:233]
	v_add_f64 v[12:13], v[12:13], v[14:15]
	v_add_f64 v[14:15], v[47:48], -v[51:52]
	v_fma_f64 v[28:29], v[104:105], v[234:235], -v[16:17]
	v_fma_f64 v[104:105], v[120:121], v[10:11], -v[8:9]
	v_mul_f64 v[8:9], v[118:119], v[6:7]
	v_add_f64 v[10:11], v[45:46], -v[49:50]
	v_mul_f64 v[16:17], v[102:103], v[230:231]
	v_fma_f64 v[110:111], v[116:117], v[4:5], v[8:9]
	v_mul_f64 v[4:5], v[118:119], v[4:5]
	v_fma_f64 v[55:56], v[100:101], v[228:229], v[16:17]
	v_mul_f64 v[16:17], v[102:103], v[228:229]
	v_fma_f64 v[106:107], v[116:117], v[6:7], -v[4:5]
	v_add_f64 v[4:5], v[220:221], v[39:40]
	v_add_f64 v[6:7], v[41:42], -v[53:54]
	v_fma_f64 v[30:31], v[100:101], v[230:231], -v[16:17]
	v_mul_f64 v[16:17], v[130:131], v[226:227]
	v_add_f64 v[4:5], v[4:5], v[43:44]
	v_fma_f64 v[20:21], v[128:129], v[224:225], v[16:17]
	v_mul_f64 v[16:17], v[130:131], v[224:225]
	v_add_f64 v[4:5], v[4:5], v[47:48]
	v_fma_f64 v[16:17], v[128:129], v[226:227], -v[16:17]
	v_add_f64 v[84:85], v[4:5], v[51:52]
	v_add_f64 v[4:5], v[43:44], v[47:48]
	v_fma_f64 v[4:5], v[4:5], -0.5, v[220:221]
	v_fma_f64 v[8:9], v[6:7], s[4:5], v[4:5]
	v_fma_f64 v[4:5], v[6:7], s[14:15], v[4:5]
	;; [unrolled: 1-line block ×6, first 2 shown]
	v_add_f64 v[4:5], v[39:40], v[51:52]
	v_add_f64 v[12:13], v[43:44], -v[39:40]
	v_fma_f64 v[4:5], v[4:5], -0.5, v[220:221]
	v_add_f64 v[12:13], v[12:13], v[14:15]
	v_add_f64 v[14:15], v[53:54], -v[49:50]
	v_fma_f64 v[8:9], v[10:11], s[14:15], v[4:5]
	v_fma_f64 v[4:5], v[10:11], s[4:5], v[4:5]
	v_add_f64 v[10:11], v[43:44], -v[47:48]
	v_add_f64 v[43:44], v[22:23], -v[20:21]
	v_fma_f64 v[8:9], v[6:7], s[6:7], v[8:9]
	v_fma_f64 v[4:5], v[6:7], s[12:13], v[4:5]
	v_add_f64 v[6:7], v[39:40], -v[51:52]
	v_add_f64 v[39:40], v[55:56], -v[36:37]
	v_fma_f64 v[100:101], v[12:13], s[0:1], v[8:9]
	v_fma_f64 v[96:97], v[12:13], s[0:1], v[4:5]
	v_add_f64 v[4:5], v[222:223], v[41:42]
	v_add_f64 v[12:13], v[41:42], -v[45:46]
	v_add_f64 v[4:5], v[4:5], v[45:46]
	v_add_f64 v[12:13], v[12:13], v[14:15]
	v_add_f64 v[14:15], v[49:50], -v[53:54]
	v_add_f64 v[4:5], v[4:5], v[49:50]
	v_add_f64 v[86:87], v[4:5], v[53:54]
	;; [unrolled: 1-line block ×3, first 2 shown]
	v_fma_f64 v[4:5], v[4:5], -0.5, v[222:223]
	v_fma_f64 v[8:9], v[6:7], s[14:15], v[4:5]
	v_fma_f64 v[4:5], v[6:7], s[4:5], v[4:5]
	;; [unrolled: 1-line block ×6, first 2 shown]
	v_add_f64 v[4:5], v[41:42], v[53:54]
	v_add_f64 v[12:13], v[45:46], -v[41:42]
	v_add_f64 v[41:42], v[36:37], -v[55:56]
	;; [unrolled: 1-line block ×3, first 2 shown]
	v_fma_f64 v[4:5], v[4:5], -0.5, v[222:223]
	v_add_f64 v[12:13], v[12:13], v[14:15]
	v_add_f64 v[14:15], v[26:27], -v[28:29]
	v_add_f64 v[45:46], v[43:44], v[45:46]
	v_fma_f64 v[8:9], v[10:11], s[4:5], v[4:5]
	v_fma_f64 v[4:5], v[10:11], s[14:15], v[4:5]
	v_add_f64 v[10:11], v[24:25], -v[30:31]
	v_fma_f64 v[8:9], v[6:7], s[12:13], v[8:9]
	v_fma_f64 v[4:5], v[6:7], s[6:7], v[4:5]
	v_add_f64 v[6:7], v[34:35], v[36:37]
	v_fma_f64 v[102:103], v[12:13], s[0:1], v[8:9]
	v_fma_f64 v[98:99], v[12:13], s[0:1], v[4:5]
	v_fma_f64 v[6:7], v[6:7], -0.5, v[0:1]
	v_add_f64 v[12:13], v[32:33], -v[34:35]
	v_add_f64 v[4:5], v[0:1], v[32:33]
	v_fma_f64 v[8:9], v[10:11], s[4:5], v[6:7]
	v_fma_f64 v[6:7], v[10:11], s[14:15], v[6:7]
	v_add_f64 v[39:40], v[12:13], v[39:40]
	v_add_f64 v[4:5], v[4:5], v[34:35]
	v_fma_f64 v[8:9], v[14:15], s[6:7], v[8:9]
	v_fma_f64 v[6:7], v[14:15], s[12:13], v[6:7]
	v_add_f64 v[4:5], v[4:5], v[36:37]
	v_fma_f64 v[12:13], v[39:40], s[0:1], v[8:9]
	v_fma_f64 v[8:9], v[39:40], s[0:1], v[6:7]
	v_add_f64 v[6:7], v[32:33], v[55:56]
	v_add_f64 v[39:40], v[34:35], -v[32:33]
	v_add_f64 v[32:33], v[32:33], -v[55:56]
	;; [unrolled: 1-line block ×4, first 2 shown]
	v_add_f64 v[4:5], v[4:5], v[55:56]
	v_fma_f64 v[6:7], v[6:7], -0.5, v[0:1]
	v_add_f64 v[39:40], v[39:40], v[41:42]
	v_add_f64 v[41:42], v[30:31], -v[28:29]
	v_fma_f64 v[0:1], v[14:15], s[14:15], v[6:7]
	v_fma_f64 v[6:7], v[14:15], s[4:5], v[6:7]
	v_add_f64 v[36:37], v[36:37], v[41:42]
	v_fma_f64 v[0:1], v[10:11], s[6:7], v[0:1]
	v_fma_f64 v[6:7], v[10:11], s[12:13], v[6:7]
	v_add_f64 v[10:11], v[26:27], v[28:29]
	v_fma_f64 v[0:1], v[39:40], s[0:1], v[0:1]
	v_fma_f64 v[39:40], v[39:40], s[0:1], v[6:7]
	v_fma_f64 v[10:11], v[10:11], -0.5, v[2:3]
	v_add_f64 v[6:7], v[2:3], v[24:25]
	v_fma_f64 v[14:15], v[32:33], s[14:15], v[10:11]
	v_fma_f64 v[10:11], v[32:33], s[4:5], v[10:11]
	v_add_f64 v[6:7], v[6:7], v[26:27]
	v_fma_f64 v[14:15], v[34:35], s[12:13], v[14:15]
	v_fma_f64 v[10:11], v[34:35], s[6:7], v[10:11]
	v_add_f64 v[6:7], v[6:7], v[28:29]
	v_fma_f64 v[14:15], v[36:37], s[0:1], v[14:15]
	v_fma_f64 v[10:11], v[36:37], s[0:1], v[10:11]
	v_add_f64 v[36:37], v[24:25], v[30:31]
	v_add_f64 v[24:25], v[26:27], -v[24:25]
	v_add_f64 v[26:27], v[28:29], -v[30:31]
	v_add_f64 v[6:7], v[6:7], v[30:31]
	v_add_f64 v[30:31], v[16:17], -v[106:107]
	v_fma_f64 v[36:37], v[36:37], -0.5, v[2:3]
	v_add_f64 v[24:25], v[24:25], v[26:27]
	v_fma_f64 v[26:27], v[34:35], s[14:15], v[36:37]
	v_fma_f64 v[2:3], v[34:35], s[4:5], v[36:37]
	v_add_f64 v[34:35], v[18:19], -v[104:105]
	v_add_f64 v[36:37], v[110:111], -v[108:109]
	v_fma_f64 v[26:27], v[32:33], s[6:7], v[26:27]
	v_fma_f64 v[2:3], v[32:33], s[12:13], v[2:3]
	v_add_f64 v[32:33], v[20:21], -v[22:23]
	v_fma_f64 v[41:42], v[24:25], s[0:1], v[26:27]
	v_add_f64 v[26:27], v[22:23], v[108:109]
	v_add_f64 v[32:33], v[32:33], v[36:37]
	v_fma_f64 v[2:3], v[24:25], s[0:1], v[2:3]
	v_add_f64 v[24:25], v[208:209], v[20:21]
	v_fma_f64 v[26:27], v[26:27], -0.5, v[208:209]
	v_add_f64 v[24:25], v[24:25], v[22:23]
	v_add_f64 v[22:23], v[22:23], -v[108:109]
	v_fma_f64 v[28:29], v[30:31], s[4:5], v[26:27]
	v_fma_f64 v[26:27], v[30:31], s[14:15], v[26:27]
	v_add_f64 v[24:25], v[24:25], v[108:109]
	v_fma_f64 v[28:29], v[34:35], s[6:7], v[28:29]
	v_fma_f64 v[26:27], v[34:35], s[12:13], v[26:27]
	v_add_f64 v[24:25], v[24:25], v[110:111]
	;; [unrolled: 3-line block ×3, first 2 shown]
	v_add_f64 v[20:21], v[20:21], -v[110:111]
	v_fma_f64 v[26:27], v[26:27], -0.5, v[208:209]
	v_fma_f64 v[36:37], v[34:35], s[14:15], v[26:27]
	v_fma_f64 v[26:27], v[34:35], s[4:5], v[26:27]
	;; [unrolled: 1-line block ×4, first 2 shown]
	v_add_f64 v[30:31], v[18:19], v[104:105]
	v_fma_f64 v[43:44], v[45:46], s[0:1], v[36:37]
	v_fma_f64 v[47:48], v[45:46], s[0:1], v[26:27]
	v_fma_f64 v[34:35], v[30:31], -0.5, v[210:211]
	v_add_f64 v[36:37], v[16:17], -v[18:19]
	v_add_f64 v[45:46], v[106:107], -v[104:105]
	v_add_f64 v[26:27], v[210:211], v[16:17]
	v_fma_f64 v[30:31], v[20:21], s[14:15], v[34:35]
	v_fma_f64 v[34:35], v[20:21], s[4:5], v[34:35]
	v_add_f64 v[36:37], v[36:37], v[45:46]
	v_add_f64 v[26:27], v[26:27], v[18:19]
	v_fma_f64 v[30:31], v[22:23], s[12:13], v[30:31]
	v_fma_f64 v[34:35], v[22:23], s[6:7], v[34:35]
	v_add_f64 v[26:27], v[26:27], v[104:105]
	v_fma_f64 v[30:31], v[36:37], s[0:1], v[30:31]
	v_fma_f64 v[34:35], v[36:37], s[0:1], v[34:35]
	v_add_f64 v[36:37], v[16:17], v[106:107]
	v_add_f64 v[16:17], v[18:19], -v[16:17]
	v_add_f64 v[18:19], v[104:105], -v[106:107]
	v_add_f64 v[26:27], v[26:27], v[106:107]
	v_fma_f64 v[36:37], v[36:37], -0.5, v[210:211]
	v_add_f64 v[16:17], v[16:17], v[18:19]
	v_fma_f64 v[45:46], v[22:23], s[4:5], v[36:37]
	v_fma_f64 v[18:19], v[22:23], s[14:15], v[36:37]
	;; [unrolled: 1-line block ×6, first 2 shown]
	buffer_load_dword v16, off, s[60:63], 0 offset:340 ; 4-byte Folded Reload
	s_waitcnt vmcnt(0)
	ds_write_b128 v16, v[84:87]
	ds_write_b128 v16, v[92:95] offset:272
	ds_write_b128 v16, v[100:103] offset:544
	ds_write_b128 v16, v[96:99] offset:816
	ds_write_b128 v16, v[88:91] offset:1088
	buffer_load_dword v16, off, s[60:63], 0 offset:344 ; 4-byte Folded Reload
	s_waitcnt vmcnt(0)
	ds_write_b128 v16, v[4:7]
	ds_write_b128 v16, v[12:15] offset:272
	ds_write_b128 v16, v[0:3] offset:544
	ds_write_b128 v16, v[39:42] offset:816
	ds_write_b128 v16, v[8:11] offset:1088
	;; [unrolled: 7-line block ×3, first 2 shown]
	s_and_saveexec_b64 s[16:17], vcc
	s_cbranch_execz .LBB0_9
; %bb.8:
	buffer_load_dword v30, off, s[60:63], 0 offset:20 ; 4-byte Folded Reload
	buffer_load_dword v31, off, s[60:63], 0 offset:24 ; 4-byte Folded Reload
	;; [unrolled: 1-line block ×20, first 2 shown]
	v_mul_f64 v[2:3], v[82:83], v[216:217]
	v_mul_f64 v[12:13], v[82:83], v[218:219]
	v_fma_f64 v[2:3], v[80:81], v[218:219], -v[2:3]
	v_fma_f64 v[12:13], v[80:81], v[216:217], v[12:13]
	v_add_f64 v[47:48], v[212:213], v[12:13]
	s_waitcnt vmcnt(18)
	v_mul_f64 v[0:1], v[78:79], v[30:31]
	s_waitcnt vmcnt(10)
	v_mul_f64 v[4:5], v[20:21], v[26:27]
	;; [unrolled: 2-line block ×3, first 2 shown]
	v_mul_f64 v[8:9], v[78:79], v[32:33]
	s_waitcnt vmcnt(0)
	v_mul_f64 v[10:11], v[24:25], v[36:37]
	v_mul_f64 v[14:15], v[20:21], v[28:29]
	v_fma_f64 v[0:1], v[76:77], v[32:33], -v[0:1]
	v_fma_f64 v[4:5], v[18:19], v[28:29], -v[4:5]
	;; [unrolled: 1-line block ×3, first 2 shown]
	v_fma_f64 v[8:9], v[76:77], v[30:31], v[8:9]
	v_fma_f64 v[10:11], v[22:23], v[34:35], v[10:11]
	;; [unrolled: 1-line block ×3, first 2 shown]
	v_add_f64 v[32:33], v[214:215], v[2:3]
	v_add_f64 v[14:15], v[0:1], -v[2:3]
	v_add_f64 v[6:7], v[2:3], v[4:5]
	v_add_f64 v[26:27], v[0:1], v[16:17]
	v_add_f64 v[18:19], v[16:17], -v[4:5]
	v_add_f64 v[22:23], v[8:9], -v[10:11]
	;; [unrolled: 1-line block ×6, first 2 shown]
	v_fma_f64 v[6:7], v[6:7], -0.5, v[214:215]
	v_fma_f64 v[2:3], v[26:27], -0.5, v[214:215]
	v_add_f64 v[26:27], v[12:13], v[20:21]
	v_add_f64 v[45:46], v[8:9], v[10:11]
	v_add_f64 v[12:13], v[12:13], -v[8:9]
	v_add_f64 v[8:9], v[47:48], v[8:9]
	v_add_f64 v[43:44], v[0:1], -v[16:17]
	v_add_f64 v[14:15], v[14:15], v[18:19]
	v_fma_f64 v[41:42], v[22:23], s[14:15], v[6:7]
	v_fma_f64 v[6:7], v[22:23], s[4:5], v[6:7]
	;; [unrolled: 1-line block ×4, first 2 shown]
	v_add_f64 v[0:1], v[32:33], v[0:1]
	v_add_f64 v[8:9], v[8:9], v[10:11]
	v_add_f64 v[30:31], v[4:5], -v[16:17]
	v_add_f64 v[36:37], v[10:11], -v[20:21]
	v_fma_f64 v[41:42], v[24:25], s[6:7], v[41:42]
	v_fma_f64 v[6:7], v[24:25], s[12:13], v[6:7]
	;; [unrolled: 1-line block ×4, first 2 shown]
	v_add_f64 v[0:1], v[0:1], v[16:17]
	v_add_f64 v[16:17], v[8:9], v[20:21]
	;; [unrolled: 1-line block ×3, first 2 shown]
	v_fma_f64 v[28:29], v[45:46], -0.5, v[212:213]
	v_fma_f64 v[2:3], v[14:15], s[0:1], v[41:42]
	v_fma_f64 v[6:7], v[14:15], s[0:1], v[6:7]
	v_add_f64 v[14:15], v[20:21], -v[10:11]
	buffer_load_dword v20, off, s[60:63], 0 offset:332 ; 4-byte Folded Reload
	buffer_load_dword v21, off, s[60:63], 0 offset:336 ; 4-byte Folded Reload
	v_fma_f64 v[26:27], v[26:27], -0.5, v[212:213]
	v_add_f64 v[34:35], v[34:35], v[36:37]
	v_fma_f64 v[10:11], v[24:25], s[0:1], v[18:19]
	v_fma_f64 v[30:31], v[39:40], s[4:5], v[28:29]
	;; [unrolled: 1-line block ×3, first 2 shown]
	v_add_f64 v[18:19], v[0:1], v[4:5]
	v_add_f64 v[36:37], v[12:13], v[14:15]
	v_fma_f64 v[14:15], v[24:25], s[0:1], v[22:23]
	v_fma_f64 v[32:33], v[43:44], s[14:15], v[26:27]
	;; [unrolled: 1-line block ×11, first 2 shown]
	s_movk_i32 s0, 0x55
	s_waitcnt vmcnt(0)
	v_mad_legacy_u16 v20, v20, s0, v21
	v_lshlrev_b32_e32 v20, 4, v20
	ds_write_b128 v20, v[16:19]
	ds_write_b128 v20, v[12:15] offset:272
	ds_write_b128 v20, v[4:7] offset:544
	;; [unrolled: 1-line block ×4, first 2 shown]
.LBB0_9:
	s_or_b64 exec, exec, s[16:17]
	s_waitcnt lgkmcnt(0)
	s_barrier
	ds_read_b128 v[0:3], v38 offset:1360
	ds_read_b128 v[34:37], v38
	ds_read_b128 v[4:7], v38 offset:2720
	ds_read_b128 v[8:11], v38 offset:4080
	s_mov_b32 s6, 0x370991
	s_waitcnt lgkmcnt(3)
	v_mul_f64 v[12:13], v[182:183], v[2:3]
	v_mul_f64 v[14:15], v[182:183], v[0:1]
	s_waitcnt lgkmcnt(1)
	v_mul_f64 v[16:17], v[178:179], v[6:7]
	v_mul_f64 v[18:19], v[178:179], v[4:5]
	s_mov_b32 s7, 0x3fedd6d0
	s_mov_b32 s16, 0x5d8e7cdc
	s_mov_b32 s0, 0x2a9d6da3
	s_mov_b32 s17, 0xbfd71e95
	v_fma_f64 v[63:64], v[180:181], v[0:1], v[12:13]
	v_fma_f64 v[65:66], v[180:181], v[2:3], -v[14:15]
	s_waitcnt lgkmcnt(0)
	v_mul_f64 v[12:13], v[154:155], v[10:11]
	v_mul_f64 v[14:15], v[154:155], v[8:9]
	v_fma_f64 v[80:81], v[176:177], v[4:5], v[16:17]
	v_fma_f64 v[82:83], v[176:177], v[6:7], -v[18:19]
	ds_read_b128 v[0:3], v38 offset:5440
	ds_read_b128 v[4:7], v38 offset:6800
	v_add_f64 v[16:17], v[34:35], v[63:64]
	v_add_f64 v[18:19], v[36:37], v[65:66]
	v_fma_f64 v[32:33], v[152:153], v[8:9], v[12:13]
	s_waitcnt lgkmcnt(1)
	v_mul_f64 v[20:21], v[146:147], v[2:3]
	v_mul_f64 v[22:23], v[146:147], v[0:1]
	v_fma_f64 v[84:85], v[152:153], v[10:11], -v[14:15]
	s_waitcnt lgkmcnt(0)
	v_mul_f64 v[28:29], v[194:195], v[6:7]
	v_mul_f64 v[30:31], v[194:195], v[4:5]
	v_add_f64 v[16:17], v[16:17], v[80:81]
	v_add_f64 v[18:19], v[18:19], v[82:83]
	ds_read_b128 v[8:11], v38 offset:8160
	ds_read_b128 v[12:15], v38 offset:9520
	v_fma_f64 v[24:25], v[144:145], v[0:1], v[20:21]
	v_fma_f64 v[26:27], v[144:145], v[2:3], -v[22:23]
	ds_read_b128 v[0:3], v38 offset:10880
	ds_read_b128 v[20:23], v38 offset:12240
	s_waitcnt lgkmcnt(3)
	v_mul_f64 v[43:44], v[162:163], v[10:11]
	v_mul_f64 v[45:46], v[162:163], v[8:9]
	v_add_f64 v[16:17], v[16:17], v[32:33]
	v_add_f64 v[18:19], v[18:19], v[84:85]
	v_fma_f64 v[76:77], v[192:193], v[4:5], v[28:29]
	v_fma_f64 v[78:79], v[192:193], v[6:7], -v[30:31]
	s_waitcnt lgkmcnt(2)
	v_mul_f64 v[51:52], v[158:159], v[14:15]
	v_mul_f64 v[53:54], v[158:159], v[12:13]
	s_waitcnt lgkmcnt(1)
	v_mul_f64 v[67:68], v[150:151], v[2:3]
	v_mul_f64 v[69:70], v[150:151], v[0:1]
	v_add_f64 v[4:5], v[16:17], v[24:25]
	v_add_f64 v[6:7], v[18:19], v[26:27]
	v_fma_f64 v[16:17], v[160:161], v[8:9], v[43:44]
	v_fma_f64 v[18:19], v[160:161], v[10:11], -v[45:46]
	v_fma_f64 v[8:9], v[156:157], v[12:13], v[51:52]
	v_fma_f64 v[10:11], v[156:157], v[14:15], -v[53:54]
	s_waitcnt lgkmcnt(0)
	v_mul_f64 v[12:13], v[202:203], v[22:23]
	v_mul_f64 v[14:15], v[202:203], v[20:21]
	v_add_f64 v[4:5], v[4:5], v[76:77]
	v_add_f64 v[6:7], v[6:7], v[78:79]
	v_fma_f64 v[0:1], v[148:149], v[0:1], v[67:68]
	v_fma_f64 v[2:3], v[148:149], v[2:3], -v[69:70]
	ds_read_b128 v[28:31], v38 offset:13600
	ds_read_b128 v[39:42], v38 offset:14960
	;; [unrolled: 1-line block ×7, first 2 shown]
	s_mov_b32 s15, 0x3fd71e95
	v_add_f64 v[4:5], v[4:5], v[16:17]
	v_add_f64 v[6:7], v[6:7], v[18:19]
	s_waitcnt lgkmcnt(6)
	v_mul_f64 v[71:72], v[174:175], v[30:31]
	v_mul_f64 v[73:74], v[174:175], v[28:29]
	s_waitcnt lgkmcnt(0)
	v_mul_f64 v[88:89], v[198:199], v[59:60]
	v_mul_f64 v[86:87], v[190:191], v[53:54]
	;; [unrolled: 1-line block ×3, first 2 shown]
	s_mov_b32 s1, 0xbfe58eea
	v_add_f64 v[67:68], v[4:5], v[8:9]
	v_add_f64 v[69:70], v[6:7], v[10:11]
	v_fma_f64 v[4:5], v[200:201], v[20:21], v[12:13]
	v_fma_f64 v[6:7], v[200:201], v[22:23], -v[14:15]
	v_fma_f64 v[12:13], v[172:173], v[28:29], v[71:72]
	v_fma_f64 v[14:15], v[172:173], v[30:31], -v[73:74]
	v_mul_f64 v[28:29], v[166:167], v[45:46]
	v_mul_f64 v[30:31], v[166:167], v[43:44]
	v_add_f64 v[20:21], v[67:68], v[0:1]
	v_add_f64 v[22:23], v[69:70], v[2:3]
	v_mul_f64 v[67:68], v[170:171], v[41:42]
	v_mul_f64 v[69:70], v[170:171], v[39:40]
	s_mov_b32 s14, s16
	s_mov_b32 s20, 0x75d4884
	;; [unrolled: 1-line block ×4, first 2 shown]
	v_add_f64 v[20:21], v[20:21], v[4:5]
	v_add_f64 v[22:23], v[22:23], v[6:7]
	v_fma_f64 v[72:73], v[168:169], v[39:40], v[67:68]
	v_fma_f64 v[74:75], v[168:169], v[41:42], -v[69:70]
	v_mul_f64 v[67:68], v[206:207], v[49:50]
	v_mul_f64 v[69:70], v[206:207], v[47:48]
	s_mov_b32 s4, 0xeb564b22
	s_mov_b32 s12, 0x3259b75e
	v_add_f64 v[39:40], v[20:21], v[12:13]
	v_add_f64 v[41:42], v[22:23], v[14:15]
	v_fma_f64 v[20:21], v[164:165], v[43:44], v[28:29]
	v_fma_f64 v[22:23], v[164:165], v[45:46], -v[30:31]
	v_mul_f64 v[43:44], v[190:191], v[51:52]
	v_mul_f64 v[45:46], v[198:199], v[61:62]
	v_fma_f64 v[61:62], v[196:197], v[61:62], -v[88:89]
	v_fma_f64 v[28:29], v[204:205], v[47:48], v[67:68]
	v_add_f64 v[39:40], v[39:40], v[72:73]
	v_add_f64 v[41:42], v[41:42], v[74:75]
	v_fma_f64 v[30:31], v[204:205], v[49:50], -v[69:70]
	v_mul_f64 v[47:48], v[186:187], v[55:56]
	v_fma_f64 v[49:50], v[188:189], v[51:52], v[86:87]
	v_fma_f64 v[45:46], v[196:197], v[59:60], v[45:46]
	v_add_f64 v[59:60], v[65:66], v[61:62]
	v_fma_f64 v[43:44], v[188:189], v[53:54], -v[43:44]
	v_add_f64 v[39:40], v[39:40], v[20:21]
	v_add_f64 v[41:42], v[41:42], v[22:23]
	v_add_f64 v[51:52], v[65:66], -v[61:62]
	v_fma_f64 v[53:54], v[184:185], v[55:56], v[90:91]
	v_fma_f64 v[47:48], v[184:185], v[57:58], -v[47:48]
	v_add_f64 v[55:56], v[63:64], v[45:46]
	v_add_f64 v[63:64], v[63:64], -v[45:46]
	v_mul_f64 v[67:68], v[59:60], s[6:7]
	v_add_f64 v[39:40], v[39:40], v[28:29]
	v_add_f64 v[41:42], v[41:42], v[30:31]
	v_mul_f64 v[86:87], v[51:52], s[0:1]
	s_mov_b32 s28, 0x923c349f
	s_mov_b32 s34, 0xc61f0d01
	;; [unrolled: 1-line block ×4, first 2 shown]
	v_fma_f64 v[69:70], v[63:64], s[14:15], v[67:68]
	v_add_f64 v[39:40], v[39:40], v[49:50]
	v_add_f64 v[41:42], v[41:42], v[43:44]
	v_fma_f64 v[67:68], v[63:64], s[16:17], v[67:68]
	s_mov_b32 s44, 0x4363dd80
	s_mov_b32 s46, 0x910ea3b9
	;; [unrolled: 1-line block ×5, first 2 shown]
	v_add_f64 v[39:40], v[39:40], v[53:54]
	v_add_f64 v[41:42], v[41:42], v[47:48]
	s_mov_b32 s23, 0xbfeca52d
	s_mov_b32 s25, 0x3fdc86fa
	;; [unrolled: 1-line block ×12, first 2 shown]
	v_mul_f64 v[65:66], v[51:52], s[16:17]
	v_mul_f64 v[88:89], v[59:60], s[20:21]
	v_add_f64 v[90:91], v[36:37], v[69:70]
	v_add_f64 v[92:93], v[36:37], v[67:68]
	;; [unrolled: 1-line block ×4, first 2 shown]
	v_fma_f64 v[39:40], v[55:56], s[20:21], v[86:87]
	v_fma_f64 v[45:46], v[55:56], s[20:21], -v[86:87]
	v_mul_f64 v[61:62], v[51:52], s[22:23]
	v_mul_f64 v[86:87], v[59:60], s[24:25]
	;; [unrolled: 1-line block ×11, first 2 shown]
	v_add_f64 v[130:131], v[82:83], v[47:48]
	v_add_f64 v[47:48], v[82:83], -v[47:48]
	v_mul_f64 v[59:60], v[59:60], s[52:53]
	s_mov_b32 s31, 0x3fe58eea
	s_mov_b32 s30, s0
	;; [unrolled: 1-line block ×14, first 2 shown]
	v_fma_f64 v[57:58], v[55:56], s[6:7], v[65:66]
	v_fma_f64 v[65:66], v[55:56], s[6:7], -v[65:66]
	v_fma_f64 v[41:42], v[63:64], s[30:31], v[88:89]
	v_fma_f64 v[88:89], v[63:64], s[0:1], v[88:89]
	;; [unrolled: 1-line block ×4, first 2 shown]
	v_fma_f64 v[61:62], v[55:56], s[24:25], -v[61:62]
	v_fma_f64 v[86:87], v[63:64], s[22:23], v[86:87]
	v_fma_f64 v[100:101], v[55:56], s[12:13], v[98:99]
	v_fma_f64 v[108:109], v[63:64], s[18:19], v[102:103]
	v_fma_f64 v[98:99], v[55:56], s[12:13], -v[98:99]
	v_fma_f64 v[102:103], v[63:64], s[4:5], v[102:103]
	v_fma_f64 v[110:111], v[55:56], s[34:35], v[104:105]
	v_fma_f64 v[112:113], v[63:64], s[36:37], v[106:107]
	;; [unrolled: 4-line block ×4, first 2 shown]
	v_fma_f64 v[120:121], v[55:56], s[46:47], -v[120:121]
	v_fma_f64 v[122:123], v[63:64], s[44:45], v[122:123]
	v_fma_f64 v[82:83], v[55:56], s[52:53], v[51:52]
	v_add_f64 v[132:133], v[80:81], v[53:54]
	v_add_f64 v[53:54], v[80:81], -v[53:54]
	v_mul_f64 v[80:81], v[47:48], s[0:1]
	v_mul_f64 v[134:135], v[130:131], s[20:21]
	v_fma_f64 v[136:137], v[63:64], s[54:55], v[59:60]
	v_fma_f64 v[51:52], v[55:56], s[52:53], -v[51:52]
	v_fma_f64 v[55:56], v[63:64], s[50:51], v[59:60]
	v_add_f64 v[57:58], v[34:35], v[57:58]
	v_add_f64 v[65:66], v[34:35], v[65:66]
	v_add_f64 v[39:40], v[34:35], v[39:40]
	v_add_f64 v[41:42], v[36:37], v[41:42]
	v_add_f64 v[45:46], v[34:35], v[45:46]
	v_add_f64 v[88:89], v[36:37], v[88:89]
	v_add_f64 v[94:95], v[34:35], v[94:95]
	v_add_f64 v[96:97], v[36:37], v[96:97]
	v_add_f64 v[61:62], v[34:35], v[61:62]
	v_add_f64 v[86:87], v[36:37], v[86:87]
	v_add_f64 v[100:101], v[34:35], v[100:101]
	v_add_f64 v[108:109], v[36:37], v[108:109]
	v_add_f64 v[98:99], v[34:35], v[98:99]
	v_add_f64 v[102:103], v[36:37], v[102:103]
	v_add_f64 v[110:111], v[34:35], v[110:111]
	v_add_f64 v[112:113], v[36:37], v[112:113]
	v_add_f64 v[104:105], v[34:35], v[104:105]
	v_add_f64 v[106:107], v[36:37], v[106:107]
	v_add_f64 v[116:117], v[34:35], v[116:117]
	v_add_f64 v[124:125], v[36:37], v[124:125]
	v_add_f64 v[114:115], v[34:35], v[114:115]
	v_add_f64 v[118:119], v[36:37], v[118:119]
	v_add_f64 v[126:127], v[34:35], v[126:127]
	v_add_f64 v[128:129], v[36:37], v[128:129]
	v_add_f64 v[59:60], v[34:35], v[120:121]
	v_add_f64 v[63:64], v[36:37], v[122:123]
	v_fma_f64 v[120:121], v[132:133], s[20:21], v[80:81]
	v_fma_f64 v[122:123], v[53:54], s[30:31], v[134:135]
	v_add_f64 v[82:83], v[34:35], v[82:83]
	v_add_f64 v[136:137], v[36:37], v[136:137]
	;; [unrolled: 1-line block ×4, first 2 shown]
	v_mul_f64 v[51:52], v[47:48], s[4:5]
	v_mul_f64 v[55:56], v[130:131], s[12:13]
	v_add_f64 v[57:58], v[120:121], v[57:58]
	v_add_f64 v[90:91], v[122:123], v[90:91]
	v_fma_f64 v[80:81], v[132:133], s[20:21], -v[80:81]
	v_fma_f64 v[120:121], v[53:54], s[0:1], v[134:135]
	v_mul_f64 v[122:123], v[47:48], s[38:39]
	v_mul_f64 v[134:135], v[130:131], s[40:41]
	v_fma_f64 v[138:139], v[132:133], s[12:13], v[51:52]
	v_fma_f64 v[140:141], v[53:54], s[18:19], v[55:56]
	v_fma_f64 v[51:52], v[132:133], s[12:13], -v[51:52]
	v_fma_f64 v[55:56], v[53:54], s[4:5], v[55:56]
	v_add_f64 v[65:66], v[80:81], v[65:66]
	v_add_f64 v[80:81], v[120:121], v[92:93]
	v_fma_f64 v[92:93], v[132:133], s[40:41], v[122:123]
	v_fma_f64 v[120:121], v[53:54], s[42:43], v[134:135]
	v_add_f64 v[39:40], v[138:139], v[39:40]
	v_add_f64 v[41:42], v[140:141], v[41:42]
	;; [unrolled: 1-line block ×4, first 2 shown]
	v_mul_f64 v[88:89], v[130:131], s[52:53]
	v_mul_f64 v[55:56], v[47:48], s[50:51]
	v_add_f64 v[92:93], v[92:93], v[94:95]
	v_add_f64 v[94:95], v[120:121], v[96:97]
	v_fma_f64 v[96:97], v[132:133], s[40:41], -v[122:123]
	v_fma_f64 v[120:121], v[53:54], s[38:39], v[134:135]
	v_mul_f64 v[122:123], v[47:48], s[48:49]
	v_mul_f64 v[134:135], v[130:131], s[46:47]
	v_fma_f64 v[140:141], v[53:54], s[54:55], v[88:89]
	v_fma_f64 v[88:89], v[53:54], s[50:51], v[88:89]
	;; [unrolled: 1-line block ×3, first 2 shown]
	v_fma_f64 v[55:56], v[132:133], s[52:53], -v[55:56]
	v_add_f64 v[61:62], v[96:97], v[61:62]
	v_add_f64 v[86:87], v[120:121], v[86:87]
	v_fma_f64 v[96:97], v[132:133], s[46:47], v[122:123]
	v_fma_f64 v[120:121], v[53:54], s[44:45], v[134:135]
	v_add_f64 v[108:109], v[140:141], v[108:109]
	v_add_f64 v[88:89], v[88:89], v[102:103]
	v_mul_f64 v[102:103], v[130:131], s[34:35]
	v_add_f64 v[55:56], v[55:56], v[98:99]
	v_mul_f64 v[98:99], v[47:48], s[36:37]
	v_fma_f64 v[122:123], v[132:133], s[46:47], -v[122:123]
	v_add_f64 v[96:97], v[96:97], v[110:111]
	v_add_f64 v[110:111], v[120:121], v[112:113]
	v_mul_f64 v[112:113], v[47:48], s[26:27]
	v_mul_f64 v[120:121], v[130:131], s[24:25]
	v_fma_f64 v[140:141], v[53:54], s[28:29], v[102:103]
	v_add_f64 v[100:101], v[138:139], v[100:101]
	v_fma_f64 v[138:139], v[132:133], s[34:35], v[98:99]
	v_fma_f64 v[98:99], v[132:133], s[34:35], -v[98:99]
	v_fma_f64 v[102:103], v[53:54], s[36:37], v[102:103]
	v_add_f64 v[104:105], v[122:123], v[104:105]
	v_fma_f64 v[142:143], v[132:133], s[24:25], v[112:113]
	v_fma_f64 v[144:145], v[53:54], s[22:23], v[120:121]
	v_add_f64 v[122:123], v[140:141], v[124:125]
	v_add_f64 v[124:125], v[84:85], -v[43:44]
	v_add_f64 v[43:44], v[84:85], v[43:44]
	v_fma_f64 v[134:135], v[53:54], s[48:49], v[134:135]
	v_add_f64 v[98:99], v[98:99], v[114:115]
	v_add_f64 v[102:103], v[102:103], v[118:119]
	v_add_f64 v[114:115], v[142:143], v[126:127]
	v_add_f64 v[118:119], v[144:145], v[128:129]
	v_mul_f64 v[47:48], v[47:48], s[14:15]
	v_mul_f64 v[84:85], v[130:131], s[6:7]
	v_fma_f64 v[112:113], v[132:133], s[24:25], -v[112:113]
	v_add_f64 v[126:127], v[32:33], v[49:50]
	v_add_f64 v[32:33], v[32:33], -v[49:50]
	v_mul_f64 v[49:50], v[124:125], s[22:23]
	v_mul_f64 v[128:129], v[43:44], s[24:25]
	v_add_f64 v[106:107], v[134:135], v[106:107]
	v_fma_f64 v[120:121], v[53:54], s[26:27], v[120:121]
	v_fma_f64 v[130:131], v[132:133], s[6:7], v[47:48]
	;; [unrolled: 1-line block ×3, first 2 shown]
	v_fma_f64 v[47:48], v[132:133], s[6:7], -v[47:48]
	v_fma_f64 v[53:54], v[53:54], s[14:15], v[84:85]
	v_add_f64 v[59:60], v[112:113], v[59:60]
	v_fma_f64 v[84:85], v[126:127], s[24:25], v[49:50]
	v_fma_f64 v[112:113], v[32:33], s[26:27], v[128:129]
	v_fma_f64 v[49:50], v[126:127], s[24:25], -v[49:50]
	v_add_f64 v[82:83], v[130:131], v[82:83]
	v_add_f64 v[63:64], v[120:121], v[63:64]
	;; [unrolled: 1-line block ×4, first 2 shown]
	v_mul_f64 v[47:48], v[124:125], s[38:39]
	v_mul_f64 v[53:54], v[43:44], s[40:41]
	v_add_f64 v[57:58], v[84:85], v[57:58]
	v_add_f64 v[84:85], v[112:113], v[90:91]
	v_fma_f64 v[90:91], v[32:33], s[22:23], v[128:129]
	v_mul_f64 v[112:113], v[124:125], s[54:55]
	v_mul_f64 v[128:129], v[43:44], s[52:53]
	v_add_f64 v[49:50], v[49:50], v[65:66]
	v_fma_f64 v[130:131], v[126:127], s[40:41], v[47:48]
	v_fma_f64 v[132:133], v[32:33], s[42:43], v[53:54]
	v_fma_f64 v[47:48], v[126:127], s[40:41], -v[47:48]
	v_fma_f64 v[53:54], v[32:33], s[38:39], v[53:54]
	v_add_f64 v[65:66], v[90:91], v[80:81]
	v_fma_f64 v[80:81], v[126:127], s[52:53], v[112:113]
	v_fma_f64 v[90:91], v[32:33], s[50:51], v[128:129]
	v_add_f64 v[120:121], v[134:135], v[136:137]
	v_add_f64 v[39:40], v[130:131], v[39:40]
	;; [unrolled: 1-line block ×5, first 2 shown]
	v_mul_f64 v[51:52], v[124:125], s[36:37]
	v_add_f64 v[80:81], v[80:81], v[92:93]
	v_fma_f64 v[92:93], v[126:127], s[52:53], -v[112:113]
	v_mul_f64 v[112:113], v[124:125], s[30:31]
	v_mul_f64 v[53:54], v[43:44], s[34:35]
	v_add_f64 v[90:91], v[90:91], v[94:95]
	v_fma_f64 v[94:95], v[32:33], s[54:55], v[128:129]
	v_mul_f64 v[128:129], v[43:44], s[20:21]
	v_fma_f64 v[130:131], v[126:127], s[34:35], v[51:52]
	v_fma_f64 v[51:52], v[126:127], s[34:35], -v[51:52]
	v_add_f64 v[61:62], v[92:93], v[61:62]
	v_fma_f64 v[92:93], v[126:127], s[20:21], v[112:113]
	v_fma_f64 v[132:133], v[32:33], s[28:29], v[53:54]
	;; [unrolled: 1-line block ×3, first 2 shown]
	v_add_f64 v[86:87], v[94:95], v[86:87]
	v_fma_f64 v[94:95], v[32:33], s[0:1], v[128:129]
	v_add_f64 v[100:101], v[130:131], v[100:101]
	v_add_f64 v[51:52], v[51:52], v[55:56]
	v_mul_f64 v[55:56], v[124:125], s[16:17]
	v_add_f64 v[92:93], v[92:93], v[96:97]
	v_mul_f64 v[96:97], v[124:125], s[4:5]
	;; [unrolled: 2-line block ×4, first 2 shown]
	v_add_f64 v[116:117], v[138:139], v[116:117]
	v_fma_f64 v[130:131], v[126:127], s[6:7], v[55:56]
	v_fma_f64 v[55:56], v[126:127], s[6:7], -v[55:56]
	v_fma_f64 v[134:135], v[126:127], s[12:13], v[96:97]
	v_add_f64 v[108:109], v[132:133], v[108:109]
	v_fma_f64 v[112:113], v[126:127], s[20:21], -v[112:113]
	v_fma_f64 v[132:133], v[32:33], s[14:15], v[88:89]
	v_fma_f64 v[88:89], v[32:33], s[16:17], v[88:89]
	v_fma_f64 v[136:137], v[32:33], s[18:19], v[110:111]
	v_fma_f64 v[128:129], v[32:33], s[30:31], v[128:129]
	v_add_f64 v[55:56], v[55:56], v[98:99]
	v_add_f64 v[98:99], v[134:135], v[114:115]
	v_add_f64 v[114:115], v[26:27], -v[30:31]
	v_add_f64 v[26:27], v[26:27], v[30:31]
	v_add_f64 v[104:105], v[112:113], v[104:105]
	;; [unrolled: 1-line block ×6, first 2 shown]
	v_mul_f64 v[30:31], v[124:125], s[44:45]
	v_mul_f64 v[43:44], v[43:44], s[46:47]
	v_fma_f64 v[96:97], v[126:127], s[12:13], -v[96:97]
	v_fma_f64 v[110:111], v[32:33], s[4:5], v[110:111]
	v_add_f64 v[118:119], v[24:25], v[28:29]
	v_add_f64 v[24:25], v[24:25], -v[28:29]
	v_mul_f64 v[28:29], v[114:115], s[4:5]
	v_mul_f64 v[122:123], v[26:27], s[12:13]
	v_add_f64 v[106:107], v[128:129], v[106:107]
	v_fma_f64 v[124:125], v[126:127], s[46:47], v[30:31]
	v_fma_f64 v[128:129], v[32:33], s[48:49], v[43:44]
	v_fma_f64 v[30:31], v[126:127], s[46:47], -v[30:31]
	v_fma_f64 v[32:33], v[32:33], s[44:45], v[43:44]
	v_add_f64 v[43:44], v[96:97], v[59:60]
	v_add_f64 v[59:60], v[110:111], v[63:64]
	v_fma_f64 v[63:64], v[118:119], s[12:13], v[28:29]
	v_fma_f64 v[96:97], v[24:25], s[18:19], v[122:123]
	v_fma_f64 v[28:29], v[118:119], s[12:13], -v[28:29]
	v_add_f64 v[110:111], v[128:129], v[120:121]
	v_add_f64 v[30:31], v[30:31], v[34:35]
	v_mul_f64 v[34:35], v[114:115], s[50:51]
	v_mul_f64 v[120:121], v[26:27], s[34:35]
	v_add_f64 v[32:33], v[32:33], v[36:37]
	v_add_f64 v[57:58], v[63:64], v[57:58]
	;; [unrolled: 1-line block ×3, first 2 shown]
	v_fma_f64 v[84:85], v[24:25], s[4:5], v[122:123]
	v_mul_f64 v[96:97], v[114:115], s[36:37]
	v_mul_f64 v[36:37], v[26:27], s[52:53]
	v_fma_f64 v[122:123], v[118:119], s[52:53], v[34:35]
	v_fma_f64 v[34:35], v[118:119], s[52:53], -v[34:35]
	v_add_f64 v[28:29], v[28:29], v[49:50]
	v_add_f64 v[82:83], v[124:125], v[82:83]
	;; [unrolled: 1-line block ×3, first 2 shown]
	v_fma_f64 v[65:66], v[118:119], s[34:35], v[96:97]
	v_fma_f64 v[84:85], v[24:25], s[28:29], v[120:121]
	v_fma_f64 v[124:125], v[24:25], s[54:55], v[36:37]
	v_fma_f64 v[36:37], v[24:25], s[50:51], v[36:37]
	v_add_f64 v[34:35], v[34:35], v[45:46]
	v_mul_f64 v[45:46], v[114:115], s[14:15]
	v_add_f64 v[39:40], v[122:123], v[39:40]
	v_add_f64 v[65:66], v[65:66], v[80:81]
	;; [unrolled: 1-line block ×3, first 2 shown]
	v_fma_f64 v[84:85], v[118:119], s[34:35], -v[96:97]
	v_fma_f64 v[90:91], v[24:25], s[36:37], v[120:121]
	v_mul_f64 v[96:97], v[114:115], s[22:23]
	v_add_f64 v[36:37], v[36:37], v[47:48]
	v_mul_f64 v[47:48], v[26:27], s[6:7]
	v_mul_f64 v[120:121], v[26:27], s[24:25]
	v_fma_f64 v[122:123], v[118:119], s[6:7], v[45:46]
	v_fma_f64 v[45:46], v[118:119], s[6:7], -v[45:46]
	v_add_f64 v[61:62], v[84:85], v[61:62]
	v_add_f64 v[84:85], v[90:91], v[86:87]
	v_fma_f64 v[86:87], v[118:119], s[24:25], v[96:97]
	v_add_f64 v[41:42], v[124:125], v[41:42]
	v_fma_f64 v[124:125], v[24:25], s[16:17], v[47:48]
	v_fma_f64 v[47:48], v[24:25], s[14:15], v[47:48]
	;; [unrolled: 1-line block ×3, first 2 shown]
	v_add_f64 v[45:46], v[45:46], v[51:52]
	v_mul_f64 v[51:52], v[114:115], s[44:45]
	v_add_f64 v[100:101], v[122:123], v[100:101]
	v_add_f64 v[86:87], v[86:87], v[92:93]
	v_mul_f64 v[92:93], v[114:115], s[42:43]
	v_add_f64 v[108:109], v[124:125], v[108:109]
	;; [unrolled: 3-line block ×3, first 2 shown]
	v_mul_f64 v[94:95], v[26:27], s[40:41]
	v_fma_f64 v[122:123], v[118:119], s[46:47], v[51:52]
	v_fma_f64 v[51:52], v[118:119], s[46:47], -v[51:52]
	v_fma_f64 v[126:127], v[118:119], s[40:41], v[92:93]
	v_fma_f64 v[96:97], v[118:119], s[24:25], -v[96:97]
	v_fma_f64 v[120:121], v[24:25], s[22:23], v[120:121]
	v_fma_f64 v[124:125], v[24:25], s[48:49], v[53:54]
	;; [unrolled: 1-line block ×4, first 2 shown]
	v_mul_f64 v[26:27], v[26:27], s[20:21]
	v_add_f64 v[51:52], v[51:52], v[55:56]
	v_add_f64 v[55:56], v[126:127], v[98:99]
	v_add_f64 v[98:99], v[78:79], -v[22:23]
	v_add_f64 v[22:23], v[78:79], v[22:23]
	v_mul_f64 v[78:79], v[114:115], s[30:31]
	v_add_f64 v[96:97], v[96:97], v[104:105]
	v_add_f64 v[104:105], v[120:121], v[106:107]
	;; [unrolled: 1-line block ×6, first 2 shown]
	v_fma_f64 v[92:93], v[118:119], s[40:41], -v[92:93]
	v_fma_f64 v[94:95], v[24:25], s[42:43], v[94:95]
	v_add_f64 v[102:103], v[76:77], v[20:21]
	v_add_f64 v[20:21], v[76:77], -v[20:21]
	v_mul_f64 v[76:77], v[98:99], s[28:29]
	v_mul_f64 v[114:115], v[22:23], s[34:35]
	v_fma_f64 v[116:117], v[118:119], s[20:21], v[78:79]
	v_fma_f64 v[120:121], v[24:25], s[0:1], v[26:27]
	v_fma_f64 v[78:79], v[118:119], s[20:21], -v[78:79]
	v_fma_f64 v[24:25], v[24:25], s[30:31], v[26:27]
	v_add_f64 v[26:27], v[92:93], v[43:44]
	v_add_f64 v[43:44], v[94:95], v[59:60]
	v_fma_f64 v[59:60], v[102:103], s[34:35], v[76:77]
	v_fma_f64 v[92:93], v[20:21], s[36:37], v[114:115]
	v_add_f64 v[82:83], v[116:117], v[82:83]
	v_add_f64 v[94:95], v[120:121], v[110:111]
	;; [unrolled: 1-line block ×4, first 2 shown]
	v_mul_f64 v[32:33], v[98:99], s[48:49]
	v_mul_f64 v[78:79], v[22:23], s[46:47]
	v_add_f64 v[57:58], v[59:60], v[57:58]
	v_add_f64 v[59:60], v[92:93], v[63:64]
	v_fma_f64 v[63:64], v[102:103], s[34:35], -v[76:77]
	v_fma_f64 v[76:77], v[20:21], s[28:29], v[114:115]
	v_mul_f64 v[92:93], v[98:99], s[30:31]
	v_mul_f64 v[110:111], v[22:23], s[20:21]
	v_fma_f64 v[114:115], v[102:103], s[46:47], v[32:33]
	v_fma_f64 v[116:117], v[20:21], s[44:45], v[78:79]
	v_fma_f64 v[32:33], v[102:103], s[46:47], -v[32:33]
	v_fma_f64 v[78:79], v[20:21], s[48:49], v[78:79]
	v_add_f64 v[28:29], v[63:64], v[28:29]
	v_add_f64 v[49:50], v[76:77], v[49:50]
	v_fma_f64 v[63:64], v[102:103], s[20:21], v[92:93]
	v_fma_f64 v[76:77], v[20:21], s[0:1], v[110:111]
	v_add_f64 v[39:40], v[114:115], v[39:40]
	v_add_f64 v[41:42], v[116:117], v[41:42]
	;; [unrolled: 1-line block ×4, first 2 shown]
	v_mul_f64 v[36:37], v[98:99], s[22:23]
	v_mul_f64 v[78:79], v[22:23], s[24:25]
	v_add_f64 v[63:64], v[63:64], v[65:66]
	v_add_f64 v[65:66], v[76:77], v[80:81]
	v_fma_f64 v[76:77], v[102:103], s[20:21], -v[92:93]
	v_fma_f64 v[80:81], v[20:21], s[30:31], v[110:111]
	v_mul_f64 v[92:93], v[98:99], s[50:51]
	v_mul_f64 v[110:111], v[22:23], s[52:53]
	v_fma_f64 v[114:115], v[102:103], s[24:25], v[36:37]
	v_fma_f64 v[116:117], v[20:21], s[26:27], v[78:79]
	v_fma_f64 v[36:37], v[102:103], s[24:25], -v[36:37]
	v_fma_f64 v[78:79], v[20:21], s[22:23], v[78:79]
	v_add_f64 v[61:62], v[76:77], v[61:62]
	v_add_f64 v[76:77], v[80:81], v[84:85]
	v_fma_f64 v[80:81], v[102:103], s[52:53], v[92:93]
	v_fma_f64 v[84:85], v[20:21], s[54:55], v[110:111]
	v_add_f64 v[100:101], v[114:115], v[100:101]
	v_add_f64 v[108:109], v[116:117], v[108:109]
	;; [unrolled: 1-line block ×4, first 2 shown]
	v_mul_f64 v[47:48], v[98:99], s[18:19]
	v_mul_f64 v[78:79], v[22:23], s[12:13]
	v_add_f64 v[80:81], v[80:81], v[86:87]
	v_add_f64 v[84:85], v[84:85], v[90:91]
	v_mul_f64 v[86:87], v[98:99], s[16:17]
	v_mul_f64 v[90:91], v[22:23], s[6:7]
	v_fma_f64 v[92:93], v[102:103], s[52:53], -v[92:93]
	v_fma_f64 v[110:111], v[20:21], s[50:51], v[110:111]
	v_fma_f64 v[114:115], v[102:103], s[12:13], v[47:48]
	;; [unrolled: 1-line block ×3, first 2 shown]
	v_fma_f64 v[47:48], v[102:103], s[12:13], -v[47:48]
	v_fma_f64 v[78:79], v[20:21], s[18:19], v[78:79]
	v_fma_f64 v[118:119], v[102:103], s[6:7], v[86:87]
	;; [unrolled: 1-line block ×3, first 2 shown]
	v_mul_f64 v[22:23], v[22:23], s[40:41]
	v_fma_f64 v[86:87], v[102:103], s[6:7], -v[86:87]
	v_add_f64 v[92:93], v[92:93], v[96:97]
	v_add_f64 v[96:97], v[110:111], v[104:105]
	;; [unrolled: 1-line block ×4, first 2 shown]
	v_add_f64 v[78:79], v[18:19], -v[74:75]
	v_add_f64 v[18:19], v[18:19], v[74:75]
	v_add_f64 v[53:54], v[118:119], v[55:56]
	v_add_f64 v[55:56], v[120:121], v[88:89]
	v_mul_f64 v[74:75], v[98:99], s[38:39]
	v_fma_f64 v[88:89], v[20:21], s[16:17], v[90:91]
	v_add_f64 v[90:91], v[16:17], v[72:73]
	v_add_f64 v[16:17], v[16:17], -v[72:73]
	v_mul_f64 v[72:73], v[78:79], s[38:39]
	v_mul_f64 v[98:99], v[18:19], s[40:41]
	v_add_f64 v[104:105], v[114:115], v[106:107]
	v_add_f64 v[106:107], v[116:117], v[112:113]
	v_fma_f64 v[110:111], v[102:103], s[40:41], v[74:75]
	v_fma_f64 v[112:113], v[20:21], s[42:43], v[22:23]
	v_fma_f64 v[74:75], v[102:103], s[40:41], -v[74:75]
	v_fma_f64 v[20:21], v[20:21], s[38:39], v[22:23]
	v_add_f64 v[22:23], v[86:87], v[26:27]
	v_add_f64 v[26:27], v[88:89], v[43:44]
	v_fma_f64 v[43:44], v[90:91], s[40:41], v[72:73]
	v_fma_f64 v[86:87], v[16:17], s[42:43], v[98:99]
	v_add_f64 v[82:83], v[110:111], v[82:83]
	v_add_f64 v[88:89], v[112:113], v[94:95]
	;; [unrolled: 1-line block ×4, first 2 shown]
	v_mul_f64 v[24:25], v[78:79], s[36:37]
	v_mul_f64 v[74:75], v[18:19], s[34:35]
	v_add_f64 v[43:44], v[43:44], v[57:58]
	v_add_f64 v[57:58], v[86:87], v[59:60]
	v_fma_f64 v[59:60], v[90:91], s[40:41], -v[72:73]
	v_fma_f64 v[72:73], v[16:17], s[38:39], v[98:99]
	v_mul_f64 v[86:87], v[78:79], s[16:17]
	v_mul_f64 v[94:95], v[18:19], s[6:7]
	v_fma_f64 v[98:99], v[90:91], s[34:35], v[24:25]
	v_fma_f64 v[102:103], v[16:17], s[28:29], v[74:75]
	v_fma_f64 v[24:25], v[90:91], s[34:35], -v[24:25]
	v_fma_f64 v[74:75], v[16:17], s[36:37], v[74:75]
	v_add_f64 v[28:29], v[59:60], v[28:29]
	v_add_f64 v[49:50], v[72:73], v[49:50]
	v_fma_f64 v[59:60], v[90:91], s[6:7], v[86:87]
	v_fma_f64 v[72:73], v[16:17], s[14:15], v[94:95]
	v_add_f64 v[39:40], v[98:99], v[39:40]
	v_add_f64 v[41:42], v[102:103], v[41:42]
	;; [unrolled: 1-line block ×4, first 2 shown]
	v_mul_f64 v[34:35], v[78:79], s[44:45]
	v_mul_f64 v[74:75], v[18:19], s[46:47]
	v_add_f64 v[59:60], v[59:60], v[63:64]
	v_add_f64 v[63:64], v[72:73], v[65:66]
	v_fma_f64 v[65:66], v[90:91], s[6:7], -v[86:87]
	v_fma_f64 v[72:73], v[16:17], s[16:17], v[94:95]
	v_mul_f64 v[86:87], v[78:79], s[18:19]
	v_mul_f64 v[94:95], v[18:19], s[12:13]
	v_fma_f64 v[98:99], v[90:91], s[46:47], v[34:35]
	v_fma_f64 v[102:103], v[16:17], s[48:49], v[74:75]
	v_fma_f64 v[34:35], v[90:91], s[46:47], -v[34:35]
	v_fma_f64 v[74:75], v[16:17], s[44:45], v[74:75]
	v_add_f64 v[61:62], v[65:66], v[61:62]
	v_add_f64 v[65:66], v[72:73], v[76:77]
	v_fma_f64 v[72:73], v[90:91], s[12:13], v[86:87]
	v_fma_f64 v[76:77], v[16:17], s[4:5], v[94:95]
	v_add_f64 v[98:99], v[98:99], v[100:101]
	v_add_f64 v[100:101], v[102:103], v[108:109]
	;; [unrolled: 1-line block ×4, first 2 shown]
	v_mul_f64 v[45:46], v[78:79], s[0:1]
	v_mul_f64 v[74:75], v[18:19], s[20:21]
	v_add_f64 v[72:73], v[72:73], v[80:81]
	v_add_f64 v[76:77], v[76:77], v[84:85]
	v_mul_f64 v[80:81], v[78:79], s[50:51]
	v_mul_f64 v[84:85], v[18:19], s[52:53]
	v_fma_f64 v[86:87], v[90:91], s[12:13], -v[86:87]
	v_fma_f64 v[94:95], v[16:17], s[18:19], v[94:95]
	v_fma_f64 v[102:103], v[90:91], s[20:21], v[45:46]
	;; [unrolled: 1-line block ×3, first 2 shown]
	v_fma_f64 v[45:46], v[90:91], s[20:21], -v[45:46]
	v_fma_f64 v[74:75], v[16:17], s[0:1], v[74:75]
	v_fma_f64 v[110:111], v[90:91], s[52:53], v[80:81]
	;; [unrolled: 1-line block ×3, first 2 shown]
	v_mul_f64 v[18:19], v[18:19], s[24:25]
	v_add_f64 v[86:87], v[86:87], v[92:93]
	v_add_f64 v[92:93], v[94:95], v[96:97]
	;; [unrolled: 1-line block ×7, first 2 shown]
	v_add_f64 v[55:56], v[10:11], -v[14:15]
	v_add_f64 v[10:11], v[10:11], v[14:15]
	v_mul_f64 v[14:15], v[78:79], s[26:27]
	v_fma_f64 v[74:75], v[90:91], s[52:53], -v[80:81]
	v_fma_f64 v[78:79], v[16:17], s[50:51], v[84:85]
	v_add_f64 v[80:81], v[8:9], v[12:13]
	v_add_f64 v[8:9], v[8:9], -v[12:13]
	v_fma_f64 v[104:105], v[16:17], s[22:23], v[18:19]
	v_mul_f64 v[12:13], v[55:56], s[44:45]
	v_mul_f64 v[84:85], v[10:11], s[46:47]
	v_fma_f64 v[102:103], v[90:91], s[24:25], v[14:15]
	v_fma_f64 v[14:15], v[90:91], s[24:25], -v[14:15]
	v_fma_f64 v[16:17], v[16:17], s[26:27], v[18:19]
	v_add_f64 v[18:19], v[74:75], v[22:23]
	v_add_f64 v[22:23], v[78:79], v[26:27]
	;; [unrolled: 1-line block ×3, first 2 shown]
	v_fma_f64 v[26:27], v[80:81], s[46:47], v[12:13]
	v_fma_f64 v[74:75], v[8:9], s[48:49], v[84:85]
	v_add_f64 v[78:79], v[102:103], v[82:83]
	v_add_f64 v[14:15], v[14:15], v[30:31]
	;; [unrolled: 1-line block ×3, first 2 shown]
	v_mul_f64 v[20:21], v[55:56], s[26:27]
	v_mul_f64 v[30:31], v[10:11], s[24:25]
	v_add_f64 v[82:83], v[104:105], v[88:89]
	v_add_f64 v[26:27], v[26:27], v[43:44]
	v_add_f64 v[43:44], v[74:75], v[57:58]
	v_fma_f64 v[12:13], v[80:81], s[46:47], -v[12:13]
	v_fma_f64 v[57:58], v[8:9], s[44:45], v[84:85]
	v_mul_f64 v[74:75], v[55:56], s[4:5]
	v_mul_f64 v[84:85], v[10:11], s[12:13]
	v_fma_f64 v[88:89], v[80:81], s[24:25], v[20:21]
	v_fma_f64 v[90:91], v[8:9], s[22:23], v[30:31]
	v_fma_f64 v[20:21], v[80:81], s[24:25], -v[20:21]
	v_fma_f64 v[30:31], v[8:9], s[26:27], v[30:31]
	v_add_f64 v[12:13], v[12:13], v[28:29]
	v_add_f64 v[28:29], v[57:58], v[49:50]
	v_fma_f64 v[49:50], v[80:81], s[12:13], v[74:75]
	v_fma_f64 v[57:58], v[8:9], s[18:19], v[84:85]
	v_add_f64 v[39:40], v[88:89], v[39:40]
	v_add_f64 v[41:42], v[90:91], v[41:42]
	;; [unrolled: 1-line block ×4, first 2 shown]
	v_mul_f64 v[32:33], v[10:11], s[40:41]
	v_mul_f64 v[30:31], v[55:56], s[42:43]
	v_add_f64 v[49:50], v[49:50], v[59:60]
	v_add_f64 v[57:58], v[57:58], v[63:64]
	v_fma_f64 v[59:60], v[80:81], s[12:13], -v[74:75]
	v_fma_f64 v[63:64], v[8:9], s[4:5], v[84:85]
	v_mul_f64 v[74:75], v[55:56], s[16:17]
	v_mul_f64 v[84:85], v[10:11], s[6:7]
	v_fma_f64 v[90:91], v[8:9], s[38:39], v[32:33]
	v_fma_f64 v[32:33], v[8:9], s[42:43], v[32:33]
	;; [unrolled: 1-line block ×3, first 2 shown]
	v_fma_f64 v[30:31], v[80:81], s[40:41], -v[30:31]
	v_add_f64 v[59:60], v[59:60], v[61:62]
	v_add_f64 v[61:62], v[63:64], v[65:66]
	v_fma_f64 v[63:64], v[80:81], s[6:7], v[74:75]
	v_fma_f64 v[65:66], v[8:9], s[14:15], v[84:85]
	v_add_f64 v[90:91], v[90:91], v[100:101]
	v_add_f64 v[32:33], v[32:33], v[36:37]
	v_mul_f64 v[36:37], v[10:11], s[52:53]
	v_add_f64 v[30:31], v[30:31], v[34:35]
	v_mul_f64 v[34:35], v[55:56], s[50:51]
	v_add_f64 v[88:89], v[88:89], v[98:99]
	v_add_f64 v[63:64], v[63:64], v[72:73]
	;; [unrolled: 1-line block ×3, first 2 shown]
	v_fma_f64 v[72:73], v[80:81], s[6:7], -v[74:75]
	v_mul_f64 v[76:77], v[55:56], s[30:31]
	v_fma_f64 v[100:101], v[8:9], s[54:55], v[36:37]
	v_fma_f64 v[36:37], v[8:9], s[50:51], v[36:37]
	;; [unrolled: 1-line block ×3, first 2 shown]
	v_fma_f64 v[34:35], v[80:81], s[52:53], -v[34:35]
	v_fma_f64 v[74:75], v[8:9], s[16:17], v[84:85]
	v_mul_f64 v[84:85], v[10:11], s[20:21]
	v_add_f64 v[72:73], v[72:73], v[86:87]
	v_fma_f64 v[86:87], v[80:81], s[20:21], v[76:77]
	v_mul_f64 v[10:11], v[10:11], s[34:35]
	v_add_f64 v[36:37], v[36:37], v[47:48]
	v_add_f64 v[47:48], v[2:3], -v[6:7]
	v_add_f64 v[94:95], v[98:99], v[94:95]
	v_add_f64 v[98:99], v[34:35], v[45:46]
	v_mul_f64 v[34:35], v[55:56], s[28:29]
	v_add_f64 v[55:56], v[2:3], v[6:7]
	v_add_f64 v[74:75], v[74:75], v[92:93]
	v_fma_f64 v[92:93], v[8:9], s[0:1], v[84:85]
	v_add_f64 v[51:52], v[86:87], v[51:52]
	v_fma_f64 v[6:7], v[8:9], s[30:31], v[84:85]
	v_add_f64 v[84:85], v[0:1], v[4:5]
	v_add_f64 v[86:87], v[0:1], -v[4:5]
	v_mul_f64 v[0:1], v[47:48], s[50:51]
	v_fma_f64 v[2:3], v[80:81], s[20:21], -v[76:77]
	v_fma_f64 v[45:46], v[80:81], s[34:35], v[34:35]
	v_mul_f64 v[4:5], v[55:56], s[52:53]
	v_add_f64 v[96:97], v[100:101], v[96:97]
	v_fma_f64 v[76:77], v[8:9], s[36:37], v[10:11]
	v_add_f64 v[100:101], v[6:7], v[22:23]
	v_fma_f64 v[6:7], v[8:9], s[28:29], v[10:11]
	v_fma_f64 v[8:9], v[84:85], s[52:53], v[0:1]
	v_add_f64 v[53:54], v[92:93], v[53:54]
	v_add_f64 v[92:93], v[2:3], v[18:19]
	;; [unrolled: 1-line block ×3, first 2 shown]
	v_fma_f64 v[2:3], v[80:81], s[34:35], -v[34:35]
	v_fma_f64 v[10:11], v[86:87], s[54:55], v[4:5]
	v_mul_f64 v[18:19], v[47:48], s[14:15]
	v_mul_f64 v[22:23], v[55:56], s[6:7]
	v_fma_f64 v[34:35], v[84:85], s[52:53], -v[0:1]
	v_fma_f64 v[45:46], v[86:87], s[50:51], v[4:5]
	v_add_f64 v[76:77], v[76:77], v[82:83]
	v_add_f64 v[82:83], v[6:7], v[16:17]
	v_add_f64 v[0:1], v[8:9], v[26:27]
	v_mul_f64 v[16:17], v[47:48], s[44:45]
	v_mul_f64 v[26:27], v[55:56], s[46:47]
	v_add_f64 v[80:81], v[2:3], v[14:15]
	v_add_f64 v[2:3], v[10:11], v[43:44]
	v_fma_f64 v[8:9], v[84:85], s[6:7], v[18:19]
	v_fma_f64 v[10:11], v[86:87], s[16:17], v[22:23]
	v_add_f64 v[4:5], v[34:35], v[12:13]
	v_add_f64 v[6:7], v[45:46], v[28:29]
	v_fma_f64 v[14:15], v[86:87], s[14:15], v[22:23]
	v_mul_f64 v[28:29], v[47:48], s[30:31]
	v_mul_f64 v[34:35], v[55:56], s[20:21]
	v_fma_f64 v[12:13], v[84:85], s[6:7], -v[18:19]
	v_fma_f64 v[18:19], v[84:85], s[46:47], v[16:17]
	v_fma_f64 v[22:23], v[86:87], s[48:49], v[26:27]
	v_mul_f64 v[43:44], v[55:56], s[40:41]
	v_add_f64 v[8:9], v[8:9], v[39:40]
	v_add_f64 v[10:11], v[10:11], v[41:42]
	;; [unrolled: 1-line block ×3, first 2 shown]
	v_fma_f64 v[24:25], v[86:87], s[44:45], v[26:27]
	v_fma_f64 v[26:27], v[84:85], s[20:21], v[28:29]
	;; [unrolled: 1-line block ×3, first 2 shown]
	v_mul_f64 v[41:42], v[47:48], s[38:39]
	v_add_f64 v[12:13], v[12:13], v[20:21]
	v_fma_f64 v[20:21], v[84:85], s[46:47], -v[16:17]
	v_add_f64 v[16:17], v[18:19], v[49:50]
	v_add_f64 v[18:19], v[22:23], v[57:58]
	v_fma_f64 v[28:29], v[84:85], s[20:21], -v[28:29]
	v_fma_f64 v[34:35], v[86:87], s[30:31], v[34:35]
	v_fma_f64 v[45:46], v[86:87], s[42:43], v[43:44]
	v_mul_f64 v[49:50], v[47:48], s[26:27]
	v_mul_f64 v[57:58], v[55:56], s[24:25]
	v_add_f64 v[22:23], v[24:25], v[61:62]
	v_add_f64 v[24:25], v[26:27], v[88:89]
	;; [unrolled: 1-line block ×3, first 2 shown]
	v_fma_f64 v[39:40], v[84:85], s[40:41], v[41:42]
	v_add_f64 v[20:21], v[20:21], v[59:60]
	v_fma_f64 v[41:42], v[84:85], s[40:41], -v[41:42]
	v_fma_f64 v[43:44], v[86:87], s[38:39], v[43:44]
	v_add_f64 v[28:29], v[28:29], v[30:31]
	v_add_f64 v[30:31], v[34:35], v[32:33]
	;; [unrolled: 1-line block ×3, first 2 shown]
	v_fma_f64 v[45:46], v[84:85], s[24:25], v[49:50]
	v_fma_f64 v[59:60], v[86:87], s[22:23], v[57:58]
	v_add_f64 v[32:33], v[39:40], v[63:64]
	v_fma_f64 v[49:50], v[84:85], s[24:25], -v[49:50]
	v_fma_f64 v[57:58], v[86:87], s[26:27], v[57:58]
	v_mul_f64 v[61:62], v[47:48], s[28:29]
	v_mul_f64 v[63:64], v[55:56], s[34:35]
	v_add_f64 v[39:40], v[41:42], v[72:73]
	v_add_f64 v[41:42], v[43:44], v[74:75]
	;; [unrolled: 1-line block ×4, first 2 shown]
	v_mul_f64 v[59:60], v[47:48], s[18:19]
	v_mul_f64 v[55:56], v[55:56], s[12:13]
	v_add_f64 v[47:48], v[49:50], v[98:99]
	v_add_f64 v[49:50], v[57:58], v[36:37]
	v_fma_f64 v[36:37], v[84:85], s[34:35], v[61:62]
	v_fma_f64 v[57:58], v[86:87], s[36:37], v[63:64]
	v_fma_f64 v[61:62], v[84:85], s[34:35], -v[61:62]
	v_fma_f64 v[63:64], v[86:87], s[28:29], v[63:64]
	v_fma_f64 v[65:66], v[84:85], s[12:13], v[59:60]
	;; [unrolled: 1-line block ×3, first 2 shown]
	v_fma_f64 v[74:75], v[84:85], s[12:13], -v[59:60]
	v_fma_f64 v[84:85], v[86:87], s[18:19], v[55:56]
	v_add_f64 v[51:52], v[36:37], v[51:52]
	v_add_f64 v[53:54], v[57:58], v[53:54]
	;; [unrolled: 1-line block ×8, first 2 shown]
	ds_write_b128 v38, v[68:71]
	ds_write_b128 v38, v[0:3] offset:1360
	ds_write_b128 v38, v[8:11] offset:2720
	;; [unrolled: 1-line block ×16, first 2 shown]
	s_waitcnt lgkmcnt(0)
	s_barrier
	ds_read_b128 v[0:3], v38
	buffer_load_dword v4, off, s[60:63], 0 offset:52 ; 4-byte Folded Reload
	buffer_load_dword v5, off, s[60:63], 0 offset:56 ; 4-byte Folded Reload
	s_waitcnt vmcnt(1)
	v_mov_b32_e32 v14, v4
	s_waitcnt vmcnt(0)
	ds_read_b128 v[4:7], v38 offset:1360
	buffer_load_dword v18, off, s[60:63], 0 offset:60 ; 4-byte Folded Reload
	buffer_load_dword v19, off, s[60:63], 0 offset:64 ; 4-byte Folded Reload
	;; [unrolled: 1-line block ×4, first 2 shown]
	buffer_load_dword v17, off, s[60:63], 0 ; 4-byte Folded Reload
	v_mad_u64_u32 v[8:9], s[0:1], s10, v14, 0
	s_waitcnt vmcnt(1) lgkmcnt(1)
	v_mul_f64 v[10:11], v[20:21], v[2:3]
	v_mul_f64 v[12:13], v[20:21], v[0:1]
	v_fma_f64 v[0:1], v[18:19], v[0:1], v[10:11]
	v_fma_f64 v[2:3], v[18:19], v[2:3], -v[12:13]
	buffer_load_dword v19, off, s[60:63], 0 offset:316 ; 4-byte Folded Reload
	buffer_load_dword v20, off, s[60:63], 0 offset:320 ; 4-byte Folded Reload
	;; [unrolled: 1-line block ×4, first 2 shown]
	v_mad_u64_u32 v[14:15], s[0:1], s11, v14, v[9:10]
	s_waitcnt vmcnt(4)
	v_mad_u64_u32 v[15:16], s[0:1], s8, v17, 0
	v_mov_b32_e32 v9, v14
	v_lshlrev_b64 v[8:9], 4, v[8:9]
	v_mov_b32_e32 v10, v16
	v_mad_u64_u32 v[10:11], s[0:1], s9, v17, v[10:11]
	s_mov_b32 s0, 0xda71079e
	s_mov_b32 s1, 0x3f46ad43
	v_mov_b32_e32 v16, v10
	v_mul_f64 v[0:1], v[0:1], s[0:1]
	v_mul_f64 v[2:3], v[2:3], s[0:1]
	v_mov_b32_e32 v14, s3
	v_add_co_u32_e32 v17, vcc, s2, v8
	v_addc_co_u32_e32 v18, vcc, v14, v9, vcc
	v_lshlrev_b64 v[8:9], 4, v[15:16]
	s_mul_i32 s2, s9, 0x550
	v_add_co_u32_e32 v14, vcc, v17, v8
	v_addc_co_u32_e32 v15, vcc, v18, v9, vcc
	global_store_dwordx4 v[14:15], v[0:3], off
	s_mul_hi_u32 s3, s8, 0x550
	s_add_i32 s2, s3, s2
	s_mul_i32 s3, s8, 0x550
	v_add_co_u32_e32 v14, vcc, s3, v14
	s_waitcnt vmcnt(1) lgkmcnt(0)
	v_mul_f64 v[10:11], v[21:22], v[6:7]
	v_mul_f64 v[12:13], v[21:22], v[4:5]
	v_fma_f64 v[10:11], v[19:20], v[4:5], v[10:11]
	v_fma_f64 v[12:13], v[19:20], v[6:7], -v[12:13]
	ds_read_b128 v[4:7], v38 offset:2720
	v_mov_b32_e32 v20, s2
	v_addc_co_u32_e32 v15, vcc, v15, v20, vcc
	v_mul_f64 v[0:1], v[10:11], s[0:1]
	ds_read_b128 v[8:11], v38 offset:4080
	buffer_load_dword v21, off, s[60:63], 0 offset:300 ; 4-byte Folded Reload
	buffer_load_dword v22, off, s[60:63], 0 offset:304 ; 4-byte Folded Reload
	buffer_load_dword v23, off, s[60:63], 0 offset:308 ; 4-byte Folded Reload
	buffer_load_dword v24, off, s[60:63], 0 offset:312 ; 4-byte Folded Reload
	v_mul_f64 v[2:3], v[12:13], s[0:1]
	s_waitcnt vmcnt(0) lgkmcnt(1)
	v_mul_f64 v[16:17], v[23:24], v[6:7]
	v_mul_f64 v[18:19], v[23:24], v[4:5]
	buffer_load_dword v23, off, s[60:63], 0 offset:284 ; 4-byte Folded Reload
	buffer_load_dword v24, off, s[60:63], 0 offset:288 ; 4-byte Folded Reload
	;; [unrolled: 1-line block ×4, first 2 shown]
	v_fma_f64 v[4:5], v[21:22], v[4:5], v[16:17]
	v_fma_f64 v[6:7], v[21:22], v[6:7], -v[18:19]
	global_store_dwordx4 v[14:15], v[0:3], off
	v_mov_b32_e32 v22, s2
	v_add_co_u32_e32 v14, vcc, s3, v14
	v_addc_co_u32_e32 v15, vcc, v15, v22, vcc
	v_mul_f64 v[0:1], v[4:5], s[0:1]
	v_mul_f64 v[2:3], v[6:7], s[0:1]
	ds_read_b128 v[4:7], v38 offset:5440
	s_waitcnt vmcnt(1) lgkmcnt(1)
	v_mul_f64 v[12:13], v[25:26], v[10:11]
	v_mul_f64 v[16:17], v[25:26], v[8:9]
	v_fma_f64 v[12:13], v[23:24], v[8:9], v[12:13]
	v_fma_f64 v[16:17], v[23:24], v[10:11], -v[16:17]
	ds_read_b128 v[8:11], v38 offset:6800
	buffer_load_dword v23, off, s[60:63], 0 offset:268 ; 4-byte Folded Reload
	buffer_load_dword v24, off, s[60:63], 0 offset:272 ; 4-byte Folded Reload
	;; [unrolled: 1-line block ×4, first 2 shown]
	s_waitcnt vmcnt(0) lgkmcnt(1)
	v_mul_f64 v[18:19], v[25:26], v[6:7]
	v_mul_f64 v[20:21], v[25:26], v[4:5]
	global_store_dwordx4 v[14:15], v[0:3], off
	v_add_co_u32_e32 v14, vcc, s3, v14
	v_mul_f64 v[0:1], v[12:13], s[0:1]
	v_mul_f64 v[2:3], v[16:17], s[0:1]
	v_addc_co_u32_e32 v15, vcc, v15, v22, vcc
	v_fma_f64 v[4:5], v[23:24], v[4:5], v[18:19]
	v_fma_f64 v[6:7], v[23:24], v[6:7], -v[20:21]
	buffer_load_dword v18, off, s[60:63], 0 offset:204 ; 4-byte Folded Reload
	buffer_load_dword v19, off, s[60:63], 0 offset:208 ; 4-byte Folded Reload
	buffer_load_dword v20, off, s[60:63], 0 offset:212 ; 4-byte Folded Reload
	buffer_load_dword v21, off, s[60:63], 0 offset:216 ; 4-byte Folded Reload
	s_waitcnt vmcnt(0) lgkmcnt(0)
	v_mul_f64 v[12:13], v[20:21], v[10:11]
	v_mul_f64 v[16:17], v[20:21], v[8:9]
	global_store_dwordx4 v[14:15], v[0:3], off
	v_add_co_u32_e32 v14, vcc, s3, v14
	v_mul_f64 v[0:1], v[4:5], s[0:1]
	v_mul_f64 v[2:3], v[6:7], s[0:1]
	ds_read_b128 v[4:7], v38 offset:8160
	v_fma_f64 v[12:13], v[18:19], v[8:9], v[12:13]
	v_fma_f64 v[16:17], v[18:19], v[10:11], -v[16:17]
	ds_read_b128 v[8:11], v38 offset:9520
	buffer_load_dword v23, off, s[60:63], 0 offset:92 ; 4-byte Folded Reload
	buffer_load_dword v24, off, s[60:63], 0 offset:96 ; 4-byte Folded Reload
	buffer_load_dword v25, off, s[60:63], 0 offset:100 ; 4-byte Folded Reload
	buffer_load_dword v26, off, s[60:63], 0 offset:104 ; 4-byte Folded Reload
	v_addc_co_u32_e32 v15, vcc, v15, v22, vcc
	global_store_dwordx4 v[14:15], v[0:3], off
	v_add_co_u32_e32 v14, vcc, s3, v14
	v_mul_f64 v[0:1], v[12:13], s[0:1]
	v_mul_f64 v[2:3], v[16:17], s[0:1]
	v_addc_co_u32_e32 v15, vcc, v15, v22, vcc
	s_waitcnt vmcnt(1) lgkmcnt(1)
	v_mul_f64 v[18:19], v[25:26], v[6:7]
	v_mul_f64 v[20:21], v[25:26], v[4:5]
	v_fma_f64 v[4:5], v[23:24], v[4:5], v[18:19]
	v_fma_f64 v[6:7], v[23:24], v[6:7], -v[20:21]
	buffer_load_dword v18, off, s[60:63], 0 offset:252 ; 4-byte Folded Reload
	buffer_load_dword v19, off, s[60:63], 0 offset:256 ; 4-byte Folded Reload
	buffer_load_dword v20, off, s[60:63], 0 offset:260 ; 4-byte Folded Reload
	buffer_load_dword v21, off, s[60:63], 0 offset:264 ; 4-byte Folded Reload
	s_waitcnt vmcnt(0) lgkmcnt(0)
	v_mul_f64 v[12:13], v[20:21], v[10:11]
	v_mul_f64 v[16:17], v[20:21], v[8:9]
	global_store_dwordx4 v[14:15], v[0:3], off
	v_add_co_u32_e32 v14, vcc, s3, v14
	v_mul_f64 v[0:1], v[4:5], s[0:1]
	v_mul_f64 v[2:3], v[6:7], s[0:1]
	ds_read_b128 v[4:7], v38 offset:10880
	v_fma_f64 v[12:13], v[18:19], v[8:9], v[12:13]
	v_fma_f64 v[16:17], v[18:19], v[10:11], -v[16:17]
	ds_read_b128 v[8:11], v38 offset:12240
	buffer_load_dword v23, off, s[60:63], 0 offset:172 ; 4-byte Folded Reload
	buffer_load_dword v24, off, s[60:63], 0 offset:176 ; 4-byte Folded Reload
	buffer_load_dword v25, off, s[60:63], 0 offset:180 ; 4-byte Folded Reload
	buffer_load_dword v26, off, s[60:63], 0 offset:184 ; 4-byte Folded Reload
	v_addc_co_u32_e32 v15, vcc, v15, v22, vcc
	global_store_dwordx4 v[14:15], v[0:3], off
	v_add_co_u32_e32 v14, vcc, s3, v14
	v_mul_f64 v[0:1], v[12:13], s[0:1]
	v_mul_f64 v[2:3], v[16:17], s[0:1]
	v_addc_co_u32_e32 v15, vcc, v15, v22, vcc
	s_waitcnt vmcnt(1) lgkmcnt(1)
	v_mul_f64 v[18:19], v[25:26], v[6:7]
	v_mul_f64 v[20:21], v[25:26], v[4:5]
	;; [unrolled: 30-line block ×5, first 2 shown]
	v_fma_f64 v[12:13], v[23:24], v[4:5], v[18:19]
	v_fma_f64 v[16:17], v[23:24], v[6:7], -v[20:21]
	ds_read_b128 v[4:7], v38 offset:21760
	buffer_load_dword v26, off, s[60:63], 0 offset:76 ; 4-byte Folded Reload
	buffer_load_dword v27, off, s[60:63], 0 offset:80 ; 4-byte Folded Reload
	;; [unrolled: 1-line block ×4, first 2 shown]
	s_waitcnt vmcnt(0) lgkmcnt(1)
	v_mul_f64 v[18:19], v[28:29], v[10:11]
	v_mul_f64 v[20:21], v[28:29], v[8:9]
	buffer_load_dword v28, off, s[60:63], 0 offset:188 ; 4-byte Folded Reload
	buffer_load_dword v29, off, s[60:63], 0 offset:192 ; 4-byte Folded Reload
	;; [unrolled: 1-line block ×4, first 2 shown]
	v_fma_f64 v[8:9], v[26:27], v[8:9], v[18:19]
	global_store_dwordx4 v[14:15], v[0:3], off
	v_fma_f64 v[10:11], v[26:27], v[10:11], -v[20:21]
	v_mul_f64 v[0:1], v[12:13], s[0:1]
	v_mul_f64 v[2:3], v[16:17], s[0:1]
	v_mov_b32_e32 v13, s2
	v_add_co_u32_e32 v12, vcc, s3, v14
	v_addc_co_u32_e32 v13, vcc, v15, v13, vcc
	global_store_dwordx4 v[12:13], v[0:3], off
	s_nop 0
	v_mul_f64 v[0:1], v[8:9], s[0:1]
	v_mul_f64 v[2:3], v[10:11], s[0:1]
	v_mov_b32_e32 v9, s2
	v_add_co_u32_e32 v8, vcc, s3, v12
	v_addc_co_u32_e32 v9, vcc, v13, v9, vcc
	global_store_dwordx4 v[8:9], v[0:3], off
	s_nop 0
	v_mov_b32_e32 v1, s2
	v_add_co_u32_e32 v0, vcc, s3, v8
	v_addc_co_u32_e32 v1, vcc, v9, v1, vcc
	s_waitcnt vmcnt(3) lgkmcnt(0)
	v_mul_f64 v[22:23], v[30:31], v[6:7]
	v_mul_f64 v[24:25], v[30:31], v[4:5]
	v_fma_f64 v[4:5], v[28:29], v[4:5], v[22:23]
	v_fma_f64 v[6:7], v[28:29], v[6:7], -v[24:25]
	v_mul_f64 v[4:5], v[4:5], s[0:1]
	v_mul_f64 v[6:7], v[6:7], s[0:1]
	global_store_dwordx4 v[0:1], v[4:7], off
.LBB0_10:
	s_endpgm
	.section	.rodata,"a",@progbits
	.p2align	6, 0x0
	.amdhsa_kernel bluestein_single_back_len1445_dim1_dp_op_CI_CI
		.amdhsa_group_segment_fixed_size 23120
		.amdhsa_private_segment_fixed_size 388
		.amdhsa_kernarg_size 104
		.amdhsa_user_sgpr_count 6
		.amdhsa_user_sgpr_private_segment_buffer 1
		.amdhsa_user_sgpr_dispatch_ptr 0
		.amdhsa_user_sgpr_queue_ptr 0
		.amdhsa_user_sgpr_kernarg_segment_ptr 1
		.amdhsa_user_sgpr_dispatch_id 0
		.amdhsa_user_sgpr_flat_scratch_init 0
		.amdhsa_user_sgpr_private_segment_size 0
		.amdhsa_uses_dynamic_stack 0
		.amdhsa_system_sgpr_private_segment_wavefront_offset 1
		.amdhsa_system_sgpr_workgroup_id_x 1
		.amdhsa_system_sgpr_workgroup_id_y 0
		.amdhsa_system_sgpr_workgroup_id_z 0
		.amdhsa_system_sgpr_workgroup_info 0
		.amdhsa_system_vgpr_workitem_id 0
		.amdhsa_next_free_vgpr 256
		.amdhsa_next_free_sgpr 64
		.amdhsa_reserve_vcc 1
		.amdhsa_reserve_flat_scratch 0
		.amdhsa_float_round_mode_32 0
		.amdhsa_float_round_mode_16_64 0
		.amdhsa_float_denorm_mode_32 3
		.amdhsa_float_denorm_mode_16_64 3
		.amdhsa_dx10_clamp 1
		.amdhsa_ieee_mode 1
		.amdhsa_fp16_overflow 0
		.amdhsa_exception_fp_ieee_invalid_op 0
		.amdhsa_exception_fp_denorm_src 0
		.amdhsa_exception_fp_ieee_div_zero 0
		.amdhsa_exception_fp_ieee_overflow 0
		.amdhsa_exception_fp_ieee_underflow 0
		.amdhsa_exception_fp_ieee_inexact 0
		.amdhsa_exception_int_div_zero 0
	.end_amdhsa_kernel
	.text
.Lfunc_end0:
	.size	bluestein_single_back_len1445_dim1_dp_op_CI_CI, .Lfunc_end0-bluestein_single_back_len1445_dim1_dp_op_CI_CI
                                        ; -- End function
	.section	.AMDGPU.csdata,"",@progbits
; Kernel info:
; codeLenInByte = 38008
; NumSgprs: 68
; NumVgprs: 256
; ScratchSize: 388
; MemoryBound: 0
; FloatMode: 240
; IeeeMode: 1
; LDSByteSize: 23120 bytes/workgroup (compile time only)
; SGPRBlocks: 8
; VGPRBlocks: 63
; NumSGPRsForWavesPerEU: 68
; NumVGPRsForWavesPerEU: 256
; Occupancy: 1
; WaveLimiterHint : 1
; COMPUTE_PGM_RSRC2:SCRATCH_EN: 1
; COMPUTE_PGM_RSRC2:USER_SGPR: 6
; COMPUTE_PGM_RSRC2:TRAP_HANDLER: 0
; COMPUTE_PGM_RSRC2:TGID_X_EN: 1
; COMPUTE_PGM_RSRC2:TGID_Y_EN: 0
; COMPUTE_PGM_RSRC2:TGID_Z_EN: 0
; COMPUTE_PGM_RSRC2:TIDIG_COMP_CNT: 0
	.type	__hip_cuid_1ae8a57158048893,@object ; @__hip_cuid_1ae8a57158048893
	.section	.bss,"aw",@nobits
	.globl	__hip_cuid_1ae8a57158048893
__hip_cuid_1ae8a57158048893:
	.byte	0                               ; 0x0
	.size	__hip_cuid_1ae8a57158048893, 1

	.ident	"AMD clang version 19.0.0git (https://github.com/RadeonOpenCompute/llvm-project roc-6.4.0 25133 c7fe45cf4b819c5991fe208aaa96edf142730f1d)"
	.section	".note.GNU-stack","",@progbits
	.addrsig
	.addrsig_sym __hip_cuid_1ae8a57158048893
	.amdgpu_metadata
---
amdhsa.kernels:
  - .args:
      - .actual_access:  read_only
        .address_space:  global
        .offset:         0
        .size:           8
        .value_kind:     global_buffer
      - .actual_access:  read_only
        .address_space:  global
        .offset:         8
        .size:           8
        .value_kind:     global_buffer
      - .actual_access:  read_only
        .address_space:  global
        .offset:         16
        .size:           8
        .value_kind:     global_buffer
      - .actual_access:  read_only
        .address_space:  global
        .offset:         24
        .size:           8
        .value_kind:     global_buffer
      - .actual_access:  read_only
        .address_space:  global
        .offset:         32
        .size:           8
        .value_kind:     global_buffer
      - .offset:         40
        .size:           8
        .value_kind:     by_value
      - .address_space:  global
        .offset:         48
        .size:           8
        .value_kind:     global_buffer
      - .address_space:  global
        .offset:         56
        .size:           8
        .value_kind:     global_buffer
      - .address_space:  global
        .offset:         64
        .size:           8
        .value_kind:     global_buffer
      - .address_space:  global
        .offset:         72
        .size:           8
        .value_kind:     global_buffer
      - .offset:         80
        .size:           4
        .value_kind:     by_value
      - .address_space:  global
        .offset:         88
        .size:           8
        .value_kind:     global_buffer
      - .address_space:  global
        .offset:         96
        .size:           8
        .value_kind:     global_buffer
    .group_segment_fixed_size: 23120
    .kernarg_segment_align: 8
    .kernarg_segment_size: 104
    .language:       OpenCL C
    .language_version:
      - 2
      - 0
    .max_flat_workgroup_size: 85
    .name:           bluestein_single_back_len1445_dim1_dp_op_CI_CI
    .private_segment_fixed_size: 388
    .sgpr_count:     68
    .sgpr_spill_count: 0
    .symbol:         bluestein_single_back_len1445_dim1_dp_op_CI_CI.kd
    .uniform_work_group_size: 1
    .uses_dynamic_stack: false
    .vgpr_count:     256
    .vgpr_spill_count: 108
    .wavefront_size: 64
amdhsa.target:   amdgcn-amd-amdhsa--gfx906
amdhsa.version:
  - 1
  - 2
...

	.end_amdgpu_metadata
